;; amdgpu-corpus repo=ROCm/rocFFT kind=compiled arch=gfx906 opt=O3
	.text
	.amdgcn_target "amdgcn-amd-amdhsa--gfx906"
	.amdhsa_code_object_version 6
	.protected	bluestein_single_back_len936_dim1_sp_op_CI_CI ; -- Begin function bluestein_single_back_len936_dim1_sp_op_CI_CI
	.globl	bluestein_single_back_len936_dim1_sp_op_CI_CI
	.p2align	8
	.type	bluestein_single_back_len936_dim1_sp_op_CI_CI,@function
bluestein_single_back_len936_dim1_sp_op_CI_CI: ; @bluestein_single_back_len936_dim1_sp_op_CI_CI
; %bb.0:
	v_mul_u32_u24_e32 v1, 0x349, v0
	s_load_dwordx4 s[16:19], s[4:5], 0x28
	v_lshrrev_b32_e32 v1, 16, v1
	v_mad_u64_u32 v[94:95], s[0:1], s6, 3, v[1:2]
	v_mov_b32_e32 v95, 0
	s_waitcnt lgkmcnt(0)
	v_cmp_gt_u64_e32 vcc, s[16:17], v[94:95]
	s_and_saveexec_b64 s[0:1], vcc
	s_cbranch_execz .LBB0_10
; %bb.1:
	s_load_dwordx4 s[0:3], s[4:5], 0x18
	s_load_dwordx4 s[12:15], s[4:5], 0x0
	v_mul_lo_u16_e32 v1, 0x4e, v1
	v_sub_u16_e32 v119, v0, v1
	v_lshlrev_b32_e32 v28, 3, v119
	s_waitcnt lgkmcnt(0)
	s_load_dwordx4 s[8:11], s[0:1], 0x0
	global_load_dwordx2 v[101:102], v28, s[12:13] offset:3744
	v_and_b32_e32 v48, 1, v119
	v_lshlrev_b32_e32 v55, 1, v119
	s_waitcnt lgkmcnt(0)
	v_mad_u64_u32 v[0:1], s[0:1], s10, v94, 0
	v_mad_u64_u32 v[2:3], s[0:1], s8, v119, 0
	s_mul_hi_u32 s7, s8, 0xfffff3d0
	s_mul_i32 s6, s9, 0xfffff3d0
	v_mad_u64_u32 v[4:5], s[0:1], s11, v94, v[1:2]
	s_sub_i32 s7, s7, s8
	s_add_i32 s6, s7, s6
	v_mad_u64_u32 v[5:6], s[0:1], s9, v119, v[3:4]
	v_mov_b32_e32 v1, v4
	v_lshlrev_b64 v[0:1], 3, v[0:1]
	v_mov_b32_e32 v6, s19
	v_mov_b32_e32 v3, v5
	v_add_co_u32_e32 v4, vcc, s18, v0
	v_addc_co_u32_e32 v5, vcc, v6, v1, vcc
	v_lshlrev_b64 v[0:1], 3, v[2:3]
	s_mul_i32 s0, s9, 0xea0
	v_add_co_u32_e32 v0, vcc, v4, v0
	v_addc_co_u32_e32 v1, vcc, v5, v1, vcc
	v_mov_b32_e32 v4, s13
	v_add_co_u32_e32 v14, vcc, s12, v28
	s_mul_hi_u32 s1, s8, 0xea0
	v_addc_co_u32_e32 v15, vcc, 0, v4, vcc
	s_add_i32 s0, s1, s0
	s_mul_i32 s1, s8, 0xea0
	global_load_dwordx2 v[2:3], v[0:1], off
	v_mov_b32_e32 v4, s0
	v_add_co_u32_e32 v0, vcc, s1, v0
	v_addc_co_u32_e32 v1, vcc, v1, v4, vcc
	s_mul_i32 s7, s8, 0xfffff3d0
	v_mov_b32_e32 v5, s6
	v_add_co_u32_e32 v4, vcc, s7, v0
	v_addc_co_u32_e32 v5, vcc, v1, v5, vcc
	v_mov_b32_e32 v7, s0
	v_add_co_u32_e32 v6, vcc, s1, v4
	v_addc_co_u32_e32 v7, vcc, v5, v7, vcc
	s_movk_i32 s8, 0x1000
	global_load_dwordx2 v[103:104], v28, s[12:13]
	global_load_dwordx2 v[99:100], v28, s[12:13] offset:624
	global_load_dwordx2 v[8:9], v[0:1], off
	global_load_dwordx2 v[10:11], v[4:5], off
	;; [unrolled: 1-line block ×3, first 2 shown]
	v_add_co_u32_e32 v0, vcc, s8, v14
	v_addc_co_u32_e32 v1, vcc, 0, v15, vcc
	v_mov_b32_e32 v5, s6
	v_add_co_u32_e32 v4, vcc, s7, v6
	v_addc_co_u32_e32 v5, vcc, v7, v5, vcc
	global_load_dwordx2 v[97:98], v[0:1], off offset:272
	global_load_dwordx2 v[6:7], v[4:5], off
	global_load_dwordx2 v[95:96], v28, s[12:13] offset:1248
	v_mov_b32_e32 v14, s0
	v_add_co_u32_e32 v4, vcc, s1, v4
	v_addc_co_u32_e32 v5, vcc, v5, v14, vcc
	global_load_dwordx2 v[14:15], v[4:5], off
	global_load_dwordx2 v[92:93], v[0:1], off offset:896
	v_mov_b32_e32 v16, s6
	v_add_co_u32_e32 v4, vcc, s7, v4
	v_addc_co_u32_e32 v5, vcc, v5, v16, vcc
	global_load_dwordx2 v[16:17], v[4:5], off
	global_load_dwordx2 v[90:91], v28, s[12:13] offset:1872
	v_mov_b32_e32 v18, s0
	v_add_co_u32_e32 v4, vcc, s1, v4
	v_addc_co_u32_e32 v5, vcc, v5, v18, vcc
	global_load_dwordx2 v[18:19], v[4:5], off
	global_load_dwordx2 v[88:89], v[0:1], off offset:1520
	v_mov_b32_e32 v20, s6
	v_add_co_u32_e32 v4, vcc, s7, v4
	v_addc_co_u32_e32 v5, vcc, v5, v20, vcc
	;; [unrolled: 10-line block ×3, first 2 shown]
	global_load_dwordx2 v[24:25], v[4:5], off
	global_load_dwordx2 v[82:83], v28, s[12:13] offset:3120
	v_mov_b32_e32 v26, s0
	v_add_co_u32_e32 v4, vcc, s1, v4
	v_addc_co_u32_e32 v5, vcc, v5, v26, vcc
	global_load_dwordx2 v[26:27], v[4:5], off
	global_load_dwordx2 v[80:81], v[0:1], off offset:2768
	s_mov_b32 s8, 0xaaaaaaab
	v_mul_hi_u32 v0, v94, s8
	s_movk_i32 s0, 0x4e
	s_load_dwordx4 s[8:11], s[2:3], 0x0
	v_add_co_u32_e32 v53, vcc, s0, v119
	v_lshrrev_b32_e32 v0, 1, v0
	v_lshl_add_u32 v0, v0, 1, v0
	v_sub_u32_e32 v0, v94, v0
	v_mul_u32_u24_e32 v1, 0x3a8, v0
	v_lshlrev_b32_e32 v121, 3, v1
	v_add_u32_e32 v120, v28, v121
	v_add_u32_e32 v35, 0xc00, v120
	;; [unrolled: 1-line block ×3, first 2 shown]
	v_addc_co_u32_e64 v54, s[0:1], 0, 0, vcc
	s_movk_i32 s0, 0x9c
	v_add_co_u32_e32 v50, vcc, s0, v119
	s_movk_i32 s0, 0xea
	v_add_co_u32_e32 v52, vcc, s0, v119
	;; [unrolled: 2-line block ×3, first 2 shown]
	s_waitcnt vmcnt(21)
	v_mul_f32_e32 v0, v3, v104
	v_mul_f32_e32 v1, v2, v104
	v_fmac_f32_e32 v0, v2, v103
	v_fma_f32 v1, v3, v103, -v1
	s_waitcnt vmcnt(19)
	v_mul_f32_e32 v2, v9, v102
	v_mul_f32_e32 v3, v8, v102
	v_fmac_f32_e32 v2, v8, v101
	v_fma_f32 v3, v9, v101, -v3
	ds_write_b64 v120, v[2:3] offset:3744
	s_waitcnt vmcnt(18)
	v_mul_f32_e32 v2, v11, v100
	v_mul_f32_e32 v3, v10, v100
	v_fmac_f32_e32 v2, v10, v99
	v_fma_f32 v3, v11, v99, -v3
	ds_write2_b64 v120, v[0:1], v[2:3] offset1:78
	s_waitcnt vmcnt(16)
	v_mul_f32_e32 v0, v12, v98
	v_fma_f32 v2, v13, v97, -v0
	s_waitcnt vmcnt(14)
	v_mul_f32_e32 v0, v6, v96
	v_mul_f32_e32 v1, v13, v98
	v_mul_f32_e32 v3, v7, v96
	v_fma_f32 v4, v7, v95, -v0
	s_waitcnt vmcnt(12)
	v_mul_f32_e32 v5, v15, v93
	v_mul_f32_e32 v0, v14, v93
	v_fmac_f32_e32 v1, v12, v97
	v_fmac_f32_e32 v3, v6, v95
	;; [unrolled: 1-line block ×3, first 2 shown]
	v_fma_f32 v6, v15, v92, -v0
	v_add_u32_e32 v0, 0x1000, v120
	ds_write2_b64 v0, v[1:2], v[5:6] offset0:34 offset1:112
	s_waitcnt vmcnt(10)
	v_mul_f32_e32 v1, v17, v91
	v_mul_f32_e32 v2, v16, v91
	v_fmac_f32_e32 v1, v16, v90
	v_fma_f32 v2, v17, v90, -v2
	ds_write2_b64 v120, v[3:4], v[1:2] offset0:156 offset1:234
	s_waitcnt vmcnt(8)
	v_mul_f32_e32 v1, v18, v89
	v_fma_f32 v3, v19, v88, -v1
	v_mul_f32_e32 v2, v19, v89
	s_waitcnt vmcnt(6)
	v_mul_f32_e32 v1, v20, v87
	v_fma_f32 v5, v21, v86, -v1
	v_fmac_f32_e32 v2, v18, v88
	v_mul_f32_e32 v4, v21, v87
	v_fmac_f32_e32 v4, v20, v86
	s_movk_i32 s0, 0x186
	s_waitcnt vmcnt(4)
	v_mul_f32_e32 v6, v23, v85
	v_mul_f32_e32 v1, v22, v85
	v_fmac_f32_e32 v6, v22, v84
	v_fma_f32 v7, v23, v84, -v1
	v_add_u32_e32 v1, 0x1400, v120
	ds_write2_b64 v1, v[2:3], v[6:7] offset0:62 offset1:140
	s_waitcnt vmcnt(2)
	v_mul_f32_e32 v6, v25, v83
	v_mul_f32_e32 v2, v24, v83
	v_fmac_f32_e32 v6, v24, v82
	v_fma_f32 v7, v25, v82, -v2
	v_add_u32_e32 v2, 0x800, v120
	ds_write2_b64 v2, v[4:5], v[6:7] offset0:56 offset1:134
	s_waitcnt vmcnt(0)
	v_mul_f32_e32 v3, v27, v81
	v_mul_f32_e32 v4, v26, v81
	v_fmac_f32_e32 v3, v26, v80
	v_fma_f32 v4, v27, v80, -v4
	ds_write_b64 v120, v[3:4] offset:6864
	s_waitcnt lgkmcnt(0)
	s_barrier
	ds_read2_b64 v[3:6], v120 offset1:78
	ds_read2_b64 v[7:10], v35 offset0:84 offset1:162
	ds_read2_b64 v[11:14], v120 offset0:156 offset1:234
	;; [unrolled: 1-line block ×5, first 2 shown]
	v_add_co_u32_e32 v65, vcc, s0, v119
	s_waitcnt lgkmcnt(2)
	v_sub_f32_e32 v33, v11, v15
	v_sub_f32_e32 v34, v12, v16
	v_fma_f32 v31, v11, 2.0, -v33
	v_fma_f32 v32, v12, 2.0, -v34
	v_sub_f32_e32 v11, v13, v17
	v_sub_f32_e32 v12, v14, v18
	s_waitcnt lgkmcnt(0)
	v_sub_f32_e32 v15, v19, v23
	v_sub_f32_e32 v16, v20, v24
	;; [unrolled: 1-line block ×6, first 2 shown]
	v_fma_f32 v9, v13, 2.0, -v11
	v_fma_f32 v10, v14, 2.0, -v12
	;; [unrolled: 1-line block ×4, first 2 shown]
	v_sub_f32_e32 v19, v21, v25
	v_sub_f32_e32 v20, v22, v26
	v_fma_f32 v27, v3, 2.0, -v29
	v_fma_f32 v28, v4, 2.0, -v30
	;; [unrolled: 1-line block ×6, first 2 shown]
	v_lshl_add_u32 v58, v119, 4, v121
	v_lshl_add_u32 v59, v53, 4, v121
	;; [unrolled: 1-line block ×6, first 2 shown]
	v_lshlrev_b32_e32 v3, 3, v48
	s_barrier
	ds_write_b128 v58, v[27:30]
	ds_write_b128 v59, v[5:8]
	;; [unrolled: 1-line block ×6, first 2 shown]
	s_waitcnt lgkmcnt(0)
	s_barrier
	global_load_dwordx2 v[56:57], v3, s[14:15]
	ds_read2_b64 v[3:6], v120 offset1:78
	ds_read2_b64 v[7:10], v35 offset0:84 offset1:162
	ds_read2_b64 v[11:14], v120 offset0:156 offset1:234
	;; [unrolled: 1-line block ×5, first 2 shown]
	s_movk_i32 s0, 0xfc
	v_lshlrev_b32_e32 v51, 1, v53
	v_lshlrev_b32_e32 v49, 1, v50
	s_load_dwordx2 s[2:3], s[4:5], 0x38
	v_lshlrev_b32_e32 v66, 1, v52
	v_lshlrev_b32_e32 v67, 1, v64
	;; [unrolled: 1-line block ×3, first 2 shown]
	s_waitcnt vmcnt(0) lgkmcnt(0)
	s_barrier
	v_mul_f32_e32 v27, v8, v57
	v_fma_f32 v27, v7, v56, -v27
	v_mul_f32_e32 v7, v7, v57
	v_fmac_f32_e32 v7, v8, v56
	v_mul_f32_e32 v8, v10, v57
	v_fma_f32 v8, v9, v56, -v8
	v_mul_f32_e32 v9, v9, v57
	v_fmac_f32_e32 v9, v10, v56
	;; [unrolled: 4-line block ×4, first 2 shown]
	v_mul_f32_e32 v18, v24, v57
	v_fma_f32 v18, v23, v56, -v18
	v_mul_f32_e32 v23, v23, v57
	v_mul_f32_e32 v45, v25, v57
	v_fmac_f32_e32 v23, v24, v56
	v_mul_f32_e32 v24, v26, v57
	v_fmac_f32_e32 v45, v26, v56
	v_sub_f32_e32 v26, v3, v27
	v_fma_f32 v44, v25, v56, -v24
	v_fma_f32 v24, v3, 2.0, -v26
	v_and_or_b32 v3, v55, s0, v48
	s_movk_i32 s0, 0x1fc
	v_lshl_add_u32 v124, v3, 3, v121
	v_and_or_b32 v3, v51, s0, v48
	s_movk_i32 s0, 0x3fc
	v_lshl_add_u32 v125, v3, 3, v121
	v_and_or_b32 v3, v49, s0, v48
	v_lshl_add_u32 v126, v3, 3, v121
	v_and_or_b32 v3, v66, s0, v48
	;; [unrolled: 2-line block ×3, first 2 shown]
	s_movk_i32 s0, 0x7fc
	v_sub_f32_e32 v27, v4, v7
	v_sub_f32_e32 v30, v5, v8
	;; [unrolled: 1-line block ×11, first 2 shown]
	v_lshl_add_u32 v128, v3, 3, v121
	v_and_or_b32 v3, v68, s0, v48
	s_movk_i32 s0, 0x48
	v_fma_f32 v25, v4, 2.0, -v27
	v_fma_f32 v28, v5, 2.0, -v30
	;; [unrolled: 1-line block ×11, first 2 shown]
	v_lshl_add_u32 v129, v3, 3, v121
	v_cmp_gt_u16_e32 vcc, s0, v119
	ds_write2_b64 v124, v[24:25], v[26:27] offset1:2
	ds_write2_b64 v125, v[28:29], v[30:31] offset1:2
	;; [unrolled: 1-line block ×6, first 2 shown]
	s_waitcnt lgkmcnt(0)
	s_barrier
	s_waitcnt lgkmcnt(0)
                                        ; implicit-def: $vgpr48
	s_and_saveexec_b64 s[0:1], vcc
	s_cbranch_execz .LBB0_3
; %bb.2:
	ds_read2_b64 v[24:27], v120 offset1:72
	ds_read2_b64 v[28:31], v120 offset0:144 offset1:216
	ds_read2_b64 v[32:35], v2 offset0:32 offset1:104
	;; [unrolled: 1-line block ×5, first 2 shown]
	ds_read_b64 v[48:49], v120 offset:6912
.LBB0_3:
	s_or_b64 exec, exec, s[0:1]
	v_and_b32_e32 v122, 3, v119
	v_mul_u32_u24_e32 v0, 12, v122
	v_lshlrev_b32_e32 v66, 3, v0
	global_load_dwordx4 v[12:15], v66, s[14:15] offset:16
	global_load_dwordx4 v[8:11], v66, s[14:15] offset:32
	;; [unrolled: 1-line block ×6, first 2 shown]
	s_mov_b32 s4, 0x3f62ad3f
	s_mov_b32 s5, 0x3f116cb1
	;; [unrolled: 1-line block ×6, first 2 shown]
	s_waitcnt vmcnt(0) lgkmcnt(0)
	s_barrier
	v_mul_f32_e32 v66, v26, v13
	v_mul_f32_e32 v67, v28, v15
	v_fmac_f32_e32 v66, v27, v12
	v_mul_f32_e32 v109, v39, v5
	v_mul_f32_e32 v77, v27, v13
	;; [unrolled: 1-line block ×4, first 2 shown]
	v_fmac_f32_e32 v78, v49, v22
	v_mul_f32_e32 v68, v30, v9
	v_mul_f32_e32 v72, v38, v5
	;; [unrolled: 1-line block ×8, first 2 shown]
	v_fmac_f32_e32 v67, v29, v14
	v_fma_f32 v38, v38, v4, -v109
	v_fmac_f32_e32 v76, v47, v20
	v_sub_f32_e32 v109, v66, v78
	v_mul_f32_e32 v79, v29, v15
	v_mul_f32_e32 v106, v33, v11
	;; [unrolled: 1-line block ×4, first 2 shown]
	v_fma_f32 v77, v26, v12, -v77
	v_fmac_f32_e32 v68, v31, v8
	v_fmac_f32_e32 v72, v39, v4
	v_fma_f32 v39, v40, v6, -v110
	v_fmac_f32_e32 v73, v41, v6
	v_fmac_f32_e32 v74, v43, v16
	v_fma_f32 v41, v44, v18, -v112
	v_fmac_f32_e32 v75, v45, v18
	v_fma_f32 v43, v48, v22, -v114
	v_sub_f32_e32 v110, v67, v76
	v_mul_f32_e32 v44, 0xbeedf032, v109
	v_mul_f32_e32 v105, v31, v9
	;; [unrolled: 1-line block ×4, first 2 shown]
	v_fma_f32 v79, v28, v14, -v79
	v_fma_f32 v106, v32, v10, -v106
	;; [unrolled: 1-line block ×4, first 2 shown]
	v_add_f32_e32 v26, v77, v43
	v_sub_f32_e32 v116, v77, v43
	v_sub_f32_e32 v112, v68, v75
	v_mul_f32_e32 v45, 0xbf52af12, v110
	v_mov_b32_e32 v32, v44
	v_mul_f32_e32 v70, v34, v1
	v_mul_f32_e32 v108, v37, v3
	v_fma_f32 v105, v30, v8, -v105
	v_fmac_f32_e32 v69, v33, v10
	v_fma_f32 v107, v34, v0, -v107
	v_add_f32_e32 v29, v66, v78
	v_add_f32_e32 v27, v79, v42
	v_sub_f32_e32 v130, v79, v42
	v_mul_f32_e32 v47, 0xbeedf032, v116
	v_mul_f32_e32 v46, 0xbf7e222b, v112
	v_mov_b32_e32 v34, v45
	v_fmac_f32_e32 v32, 0x3f62ad3f, v26
	v_mul_f32_e32 v71, v36, v3
	v_fma_f32 v108, v36, v2, -v108
	v_add_f32_e32 v30, v67, v76
	v_add_f32_e32 v28, v105, v41
	v_mul_f32_e32 v48, 0xbf52af12, v130
	v_fma_f32 v33, v29, s4, -v47
	v_mov_b32_e32 v36, v46
	v_fmac_f32_e32 v34, 0x3f116cb1, v27
	v_add_f32_e32 v32, v24, v32
	v_sub_f32_e32 v133, v69, v74
	v_fmac_f32_e32 v70, v35, v0
	v_sub_f32_e32 v131, v105, v41
	v_fma_f32 v35, v30, s5, -v48
	v_add_f32_e32 v33, v25, v33
	v_fmac_f32_e32 v36, 0x3df6dbef, v28
	v_add_f32_e32 v32, v34, v32
	v_mul_f32_e32 v111, 0xbf6f5d39, v133
	v_add_f32_e32 v31, v68, v75
	v_mul_f32_e32 v49, 0xbf7e222b, v131
	v_add_f32_e32 v33, v35, v33
	v_add_f32_e32 v35, v36, v32
	;; [unrolled: 1-line block ×3, first 2 shown]
	v_sub_f32_e32 v137, v106, v40
	v_mov_b32_e32 v36, v111
	v_fmac_f32_e32 v71, v37, v2
	v_fma_f32 v37, v31, s6, -v49
	v_add_f32_e32 v34, v69, v74
	v_mul_f32_e32 v114, 0xbf6f5d39, v137
	v_fmac_f32_e32 v36, 0xbeb58ec6, v32
	v_sub_f32_e32 v135, v70, v73
	v_add_f32_e32 v33, v37, v33
	v_add_f32_e32 v35, v36, v35
	v_fma_f32 v36, v34, s7, -v114
	v_mul_f32_e32 v113, 0xbf29c268, v135
	v_add_f32_e32 v37, v36, v33
	v_add_f32_e32 v33, v107, v39
	v_sub_f32_e32 v138, v107, v39
	v_mov_b32_e32 v115, v113
	v_add_f32_e32 v36, v70, v73
	v_mul_f32_e32 v132, 0xbf29c268, v138
	v_fmac_f32_e32 v115, 0xbf3f9e67, v33
	v_sub_f32_e32 v136, v71, v72
	v_add_f32_e32 v117, v115, v35
	v_fma_f32 v35, v36, s16, -v132
	v_mul_f32_e32 v115, 0xbe750f2a, v136
	v_add_f32_e32 v118, v35, v37
	v_add_f32_e32 v35, v108, v38
	v_sub_f32_e32 v139, v108, v38
	v_mov_b32_e32 v123, v115
	v_add_f32_e32 v37, v71, v72
	v_mul_f32_e32 v134, 0xbe750f2a, v139
	v_fmac_f32_e32 v123, 0xbf788fa5, v35
	v_add_f32_e32 v117, v123, v117
	v_fma_f32 v123, v37, s17, -v134
	v_add_f32_e32 v118, v123, v118
	v_lshrrev_b32_e32 v123, 2, v119
	s_and_saveexec_b64 s[0:1], vcc
	s_cbranch_execz .LBB0_5
; %bb.4:
	v_mul_f32_e32 v150, 0x3df6dbef, v29
	v_mov_b32_e32 v140, v150
	v_mul_f32_e32 v151, 0xbf788fa5, v30
	v_fmac_f32_e32 v140, 0x3f7e222b, v116
	v_mov_b32_e32 v141, v151
	v_add_f32_e32 v140, v25, v140
	v_fmac_f32_e32 v141, 0x3e750f2a, v130
	v_mul_f32_e32 v164, 0xbeb58ec6, v31
	v_add_f32_e32 v140, v141, v140
	v_mov_b32_e32 v141, v164
	v_fmac_f32_e32 v141, 0xbf6f5d39, v131
	v_mul_f32_e32 v165, 0x3f62ad3f, v34
	v_add_f32_e32 v140, v141, v140
	v_mov_b32_e32 v141, v165
	v_fmac_f32_e32 v141, 0xbeedf032, v137
	v_mul_f32_e32 v166, 0x3f116cb1, v36
	v_add_f32_e32 v140, v141, v140
	v_mov_b32_e32 v141, v166
	v_fmac_f32_e32 v141, 0x3f52af12, v138
	v_mul_f32_e32 v167, 0xbf3f9e67, v37
	v_add_f32_e32 v140, v141, v140
	v_mov_b32_e32 v141, v167
	v_fmac_f32_e32 v141, 0x3f29c268, v139
	v_mul_f32_e32 v168, 0xbf7e222b, v109
	v_add_f32_e32 v141, v141, v140
	v_mov_b32_e32 v140, v168
	v_mul_f32_e32 v169, 0xbe750f2a, v110
	v_fmac_f32_e32 v140, 0x3df6dbef, v26
	v_mov_b32_e32 v142, v169
	v_add_f32_e32 v140, v24, v140
	v_fmac_f32_e32 v142, 0xbf788fa5, v27
	v_mul_f32_e32 v170, 0x3f6f5d39, v112
	v_add_f32_e32 v140, v142, v140
	v_mov_b32_e32 v142, v170
	v_fmac_f32_e32 v142, 0xbeb58ec6, v28
	v_mul_f32_e32 v171, 0x3eedf032, v133
	v_add_f32_e32 v140, v142, v140
	v_mov_b32_e32 v142, v171
	v_fmac_f32_e32 v142, 0x3f62ad3f, v32
	v_mul_f32_e32 v172, 0xbf52af12, v135
	v_add_f32_e32 v140, v142, v140
	v_mov_b32_e32 v142, v172
	v_fmac_f32_e32 v142, 0x3f116cb1, v33
	v_mul_f32_e32 v173, 0xbf29c268, v136
	v_add_f32_e32 v140, v142, v140
	v_mov_b32_e32 v142, v173
	v_fmac_f32_e32 v142, 0xbf3f9e67, v35
	v_mul_f32_e32 v146, 0xbf3f9e67, v29
	v_add_f32_e32 v140, v142, v140
	v_mov_b32_e32 v142, v146
	v_mul_f32_e32 v147, 0x3df6dbef, v30
	v_fmac_f32_e32 v142, 0x3f29c268, v116
	v_mov_b32_e32 v143, v147
	v_add_f32_e32 v142, v25, v142
	v_fmac_f32_e32 v143, 0xbf7e222b, v130
	v_mul_f32_e32 v148, 0x3f116cb1, v31
	v_add_f32_e32 v142, v143, v142
	v_mov_b32_e32 v143, v148
	v_fmac_f32_e32 v143, 0x3f52af12, v131
	v_mul_f32_e32 v149, 0xbf788fa5, v34
	v_add_f32_e32 v142, v143, v142
	v_mov_b32_e32 v143, v149
	v_fmac_f32_e32 v143, 0xbe750f2a, v137
	v_mul_f32_e32 v174, 0x3f62ad3f, v36
	v_add_f32_e32 v142, v143, v142
	v_mov_b32_e32 v143, v174
	v_fmac_f32_e32 v143, 0xbeedf032, v138
	v_mul_f32_e32 v175, 0xbeb58ec6, v37
	v_add_f32_e32 v142, v143, v142
	v_mov_b32_e32 v143, v175
	v_fmac_f32_e32 v143, 0x3f6f5d39, v139
	v_mul_f32_e32 v176, 0xbf29c268, v109
	v_add_f32_e32 v143, v143, v142
	v_mov_b32_e32 v142, v176
	v_mul_f32_e32 v177, 0x3f7e222b, v110
	v_fmac_f32_e32 v142, 0xbf3f9e67, v26
	v_mov_b32_e32 v144, v177
	v_add_f32_e32 v142, v24, v142
	v_fmac_f32_e32 v144, 0x3df6dbef, v27
	v_mul_f32_e32 v178, 0xbf52af12, v112
	v_add_f32_e32 v142, v144, v142
	v_mov_b32_e32 v144, v178
	v_fmac_f32_e32 v144, 0x3f116cb1, v28
	v_mul_f32_e32 v179, 0x3e750f2a, v133
	v_add_f32_e32 v142, v144, v142
	v_mov_b32_e32 v144, v179
	;; [unrolled: 4-line block ×3, first 2 shown]
	v_fmac_f32_e32 v144, 0x3f62ad3f, v33
	v_mul_f32_e32 v181, 0xbf6f5d39, v136
	v_fmac_f32_e32 v146, 0xbf29c268, v116
	v_add_f32_e32 v142, v144, v142
	v_mov_b32_e32 v144, v181
	v_add_f32_e32 v146, v25, v146
	v_fmac_f32_e32 v147, 0x3f7e222b, v130
	v_fmac_f32_e32 v144, 0xbeb58ec6, v35
	v_mul_f32_e32 v182, 0xbe750f2a, v116
	v_add_f32_e32 v146, v147, v146
	v_fmac_f32_e32 v148, 0xbf52af12, v131
	v_add_f32_e32 v142, v144, v142
	v_mov_b32_e32 v144, v182
	v_mul_f32_e32 v183, 0x3eedf032, v130
	v_add_f32_e32 v146, v148, v146
	v_fmac_f32_e32 v149, 0x3e750f2a, v137
	v_fmac_f32_e32 v150, 0xbf7e222b, v116
	v_mul_f32_e32 v152, 0x3f62ad3f, v26
	v_fmac_f32_e32 v144, 0xbf788fa5, v29
	v_mov_b32_e32 v145, v183
	v_add_f32_e32 v146, v149, v146
	v_fmac_f32_e32 v174, 0x3eedf032, v138
	v_add_f32_e32 v150, v25, v150
	v_fmac_f32_e32 v151, 0xbe750f2a, v130
	v_mul_f32_e32 v154, 0x3f116cb1, v27
	v_add_f32_e32 v144, v25, v144
	v_fmac_f32_e32 v145, 0x3f62ad3f, v30
	v_mul_f32_e32 v184, 0xbf29c268, v131
	v_add_f32_e32 v146, v174, v146
	v_fmac_f32_e32 v175, 0xbf6f5d39, v139
	v_add_f32_e32 v150, v151, v150
	v_fmac_f32_e32 v164, 0x3f6f5d39, v131
	v_sub_f32_e32 v44, v152, v44
	v_mul_f32_e32 v156, 0x3df6dbef, v28
	v_add_f32_e32 v144, v145, v144
	v_mov_b32_e32 v145, v184
	v_add_f32_e32 v147, v175, v146
	v_fma_f32 v146, v26, s16, -v176
	v_add_f32_e32 v150, v164, v150
	v_fmac_f32_e32 v165, 0x3eedf032, v137
	v_add_f32_e32 v44, v24, v44
	v_sub_f32_e32 v45, v154, v45
	v_mul_f32_e32 v158, 0xbeb58ec6, v32
	v_fmac_f32_e32 v145, 0xbf3f9e67, v31
	v_mul_f32_e32 v185, 0x3f52af12, v137
	v_add_f32_e32 v146, v24, v146
	v_fma_f32 v148, v27, s6, -v177
	v_add_f32_e32 v150, v165, v150
	v_fmac_f32_e32 v166, 0xbf52af12, v138
	v_add_f32_e32 v44, v45, v44
	v_sub_f32_e32 v45, v156, v46
	v_mul_f32_e32 v160, 0xbf3f9e67, v33
	v_add_f32_e32 v144, v145, v144
	v_mov_b32_e32 v145, v185
	v_add_f32_e32 v146, v148, v146
	v_fma_f32 v148, v28, s5, -v178
	v_add_f32_e32 v150, v166, v150
	v_fmac_f32_e32 v167, 0xbf29c268, v139
	v_add_f32_e32 v44, v45, v44
	v_sub_f32_e32 v45, v158, v111
	v_mul_f32_e32 v162, 0xbf788fa5, v35
	v_fmac_f32_e32 v145, 0x3f116cb1, v34
	v_mul_f32_e32 v186, 0xbf6f5d39, v138
	v_add_f32_e32 v146, v148, v146
	v_fma_f32 v148, v32, s17, -v179
	v_add_f32_e32 v151, v167, v150
	v_fma_f32 v150, v26, s6, -v168
	v_add_f32_e32 v44, v45, v44
	v_sub_f32_e32 v45, v160, v113
	v_add_f32_e32 v144, v145, v144
	v_mov_b32_e32 v145, v186
	v_add_f32_e32 v146, v148, v146
	v_fma_f32 v148, v33, s4, -v180
	v_add_f32_e32 v150, v24, v150
	v_fma_f32 v164, v27, s17, -v169
	v_add_f32_e32 v44, v45, v44
	v_sub_f32_e32 v45, v162, v115
	v_fmac_f32_e32 v145, 0xbeb58ec6, v36
	v_mul_f32_e32 v187, 0x3f7e222b, v139
	v_add_f32_e32 v146, v148, v146
	v_fma_f32 v148, v35, s7, -v181
	v_mul_f32_e32 v174, 0xbf6f5d39, v116
	v_add_f32_e32 v150, v164, v150
	v_fma_f32 v164, v28, s7, -v170
	v_add_f32_e32 v46, v45, v44
	v_add_f32_e32 v45, v24, v77
	;; [unrolled: 1-line block ×3, first 2 shown]
	v_mov_b32_e32 v145, v187
	v_add_f32_e32 v146, v148, v146
	v_mov_b32_e32 v148, v174
	v_mul_f32_e32 v175, 0x3f29c268, v130
	v_add_f32_e32 v150, v164, v150
	v_fma_f32 v164, v32, s4, -v171
	v_add_f32_e32 v45, v45, v79
	v_fmac_f32_e32 v145, 0x3df6dbef, v37
	v_mul_f32_e32 v188, 0xbe750f2a, v109
	v_fmac_f32_e32 v148, 0xbeb58ec6, v29
	v_mov_b32_e32 v149, v175
	v_add_f32_e32 v150, v164, v150
	v_fma_f32 v164, v33, s5, -v172
	v_add_f32_e32 v45, v45, v105
	v_add_f32_e32 v145, v145, v144
	v_fma_f32 v144, v26, s17, -v188
	v_mul_f32_e32 v189, 0x3eedf032, v110
	v_add_f32_e32 v148, v25, v148
	v_fmac_f32_e32 v149, 0xbf3f9e67, v30
	v_mul_f32_e32 v176, 0x3eedf032, v131
	v_add_f32_e32 v150, v164, v150
	v_fma_f32 v164, v35, s16, -v173
	v_mul_f32_e32 v116, 0xbf52af12, v116
	v_add_f32_e32 v45, v45, v106
	v_add_f32_e32 v144, v24, v144
	v_fma_f32 v190, v27, s4, -v189
	v_add_f32_e32 v148, v149, v148
	v_mov_b32_e32 v149, v176
	v_add_f32_e32 v150, v164, v150
	v_mov_b32_e32 v164, v116
	v_mul_f32_e32 v165, 0xbf6f5d39, v130
	v_add_f32_e32 v45, v45, v107
	v_add_f32_e32 v144, v190, v144
	v_mul_f32_e32 v190, 0xbf29c268, v112
	v_fmac_f32_e32 v149, 0x3f62ad3f, v31
	v_mul_f32_e32 v177, 0xbf7e222b, v137
	v_fmac_f32_e32 v164, 0x3f116cb1, v29
	v_mov_b32_e32 v130, v165
	v_add_f32_e32 v45, v45, v108
	v_fma_f32 v191, v28, s16, -v190
	v_add_f32_e32 v148, v149, v148
	v_mov_b32_e32 v149, v177
	v_add_f32_e32 v164, v25, v164
	v_fmac_f32_e32 v130, 0xbeb58ec6, v30
	v_add_f32_e32 v38, v45, v38
	v_add_f32_e32 v144, v191, v144
	v_mul_f32_e32 v191, 0x3f52af12, v133
	v_fmac_f32_e32 v149, 0x3df6dbef, v34
	v_mul_f32_e32 v178, 0x3e750f2a, v138
	v_add_f32_e32 v130, v130, v164
	v_mul_f32_e32 v164, 0xbe750f2a, v131
	v_add_f32_e32 v38, v38, v39
	v_fma_f32 v192, v32, s5, -v191
	v_add_f32_e32 v148, v149, v148
	v_mov_b32_e32 v149, v178
	v_mov_b32_e32 v131, v164
	v_add_f32_e32 v38, v38, v40
	v_add_f32_e32 v144, v192, v144
	v_mul_f32_e32 v192, 0xbf6f5d39, v135
	v_fmac_f32_e32 v149, 0xbf788fa5, v36
	v_mul_f32_e32 v179, 0x3f52af12, v139
	v_fmac_f32_e32 v131, 0xbf788fa5, v31
	v_mul_f32_e32 v137, 0x3f29c268, v137
	v_add_f32_e32 v38, v38, v41
	v_fma_f32 v193, v33, s7, -v192
	v_add_f32_e32 v148, v149, v148
	v_mov_b32_e32 v149, v179
	v_add_f32_e32 v130, v131, v130
	v_mov_b32_e32 v131, v137
	v_add_f32_e32 v44, v25, v66
	v_add_f32_e32 v38, v38, v42
	;; [unrolled: 1-line block ×3, first 2 shown]
	v_mul_f32_e32 v193, 0x3f7e222b, v136
	v_fmac_f32_e32 v149, 0x3f116cb1, v37
	v_mul_f32_e32 v180, 0xbf6f5d39, v109
	v_fmac_f32_e32 v131, 0xbf3f9e67, v34
	v_mul_f32_e32 v138, 0x3f7e222b, v138
	v_add_f32_e32 v44, v44, v67
	v_add_f32_e32 v43, v38, v43
	v_fma_f32 v38, v29, s17, -v182
	v_fma_f32 v40, v29, s7, -v174
	v_fma_f32 v194, v35, s6, -v193
	v_add_f32_e32 v149, v149, v148
	v_fma_f32 v148, v26, s7, -v180
	v_mul_f32_e32 v181, 0x3f29c268, v110
	v_add_f32_e32 v130, v131, v130
	v_mov_b32_e32 v131, v138
	v_add_f32_e32 v44, v44, v68
	v_add_f32_e32 v38, v25, v38
	v_fma_f32 v39, v30, s4, -v183
	v_add_f32_e32 v40, v25, v40
	v_fma_f32 v41, v30, s16, -v175
	v_add_f32_e32 v144, v194, v144
	v_add_f32_e32 v148, v24, v148
	v_fma_f32 v194, v27, s16, -v181
	v_fmac_f32_e32 v131, 0x3df6dbef, v36
	v_mul_f32_e32 v139, 0x3eedf032, v139
	v_add_f32_e32 v44, v44, v69
	v_add_f32_e32 v38, v39, v38
	v_fma_f32 v39, v31, s16, -v184
	v_add_f32_e32 v40, v41, v40
	v_fma_f32 v41, v31, s4, -v176
	v_mul_f32_e32 v153, 0x3f62ad3f, v29
	v_add_f32_e32 v148, v194, v148
	v_mul_f32_e32 v194, 0x3eedf032, v112
	v_add_f32_e32 v130, v131, v130
	v_mov_b32_e32 v131, v139
	v_add_f32_e32 v44, v44, v70
	v_add_f32_e32 v38, v39, v38
	v_fma_f32 v39, v34, s5, -v185
	v_add_f32_e32 v40, v41, v40
	v_fma_f32 v41, v34, s6, -v177
	v_mul_f32_e32 v155, 0x3f116cb1, v30
	v_fma_f32 v195, v28, s4, -v194
	v_fmac_f32_e32 v131, 0x3f62ad3f, v37
	v_mul_f32_e32 v109, 0xbf52af12, v109
	v_add_f32_e32 v47, v47, v153
	v_add_f32_e32 v44, v44, v71
	;; [unrolled: 1-line block ×3, first 2 shown]
	v_fma_f32 v39, v36, s7, -v186
	v_add_f32_e32 v40, v41, v40
	v_fma_f32 v41, v36, s17, -v178
	v_mul_f32_e32 v157, 0x3df6dbef, v31
	v_add_f32_e32 v148, v195, v148
	v_mul_f32_e32 v195, 0xbf7e222b, v133
	v_add_f32_e32 v131, v131, v130
	v_fma_f32 v130, v26, s5, -v109
	v_mul_f32_e32 v110, 0xbf6f5d39, v110
	v_add_f32_e32 v47, v25, v47
	v_add_f32_e32 v48, v48, v155
	;; [unrolled: 1-line block ×4, first 2 shown]
	v_fma_f32 v39, v37, s6, -v187
	v_fmac_f32_e32 v188, 0xbf788fa5, v26
	v_add_f32_e32 v40, v41, v40
	v_fma_f32 v41, v37, s5, -v179
	v_fmac_f32_e32 v180, 0xbeb58ec6, v26
	v_fma_f32 v29, v29, s5, -v116
	v_fmac_f32_e32 v109, 0x3f116cb1, v26
	v_mul_f32_e32 v159, 0xbeb58ec6, v34
	v_fma_f32 v196, v32, s6, -v195
	v_add_f32_e32 v130, v24, v130
	v_fma_f32 v166, v27, s7, -v110
	v_mul_f32_e32 v112, 0xbe750f2a, v112
	v_add_f32_e32 v47, v48, v47
	v_add_f32_e32 v48, v49, v157
	;; [unrolled: 1-line block ×5, first 2 shown]
	v_fmac_f32_e32 v189, 0x3f62ad3f, v27
	v_add_f32_e32 v41, v41, v40
	v_add_f32_e32 v40, v24, v180
	v_fmac_f32_e32 v181, 0xbf3f9e67, v27
	v_add_f32_e32 v25, v25, v29
	v_fma_f32 v29, v30, s7, -v165
	v_add_f32_e32 v24, v24, v109
	v_fmac_f32_e32 v110, 0xbeb58ec6, v27
	v_mul_f32_e32 v161, 0xbf3f9e67, v36
	v_add_f32_e32 v148, v196, v148
	v_mul_f32_e32 v196, 0x3e750f2a, v135
	v_add_f32_e32 v130, v166, v130
	v_fma_f32 v166, v28, s17, -v112
	v_mul_f32_e32 v133, 0x3f29c268, v133
	v_add_f32_e32 v47, v48, v47
	v_add_f32_e32 v48, v114, v159
	;; [unrolled: 1-line block ×4, first 2 shown]
	v_fmac_f32_e32 v190, 0xbf3f9e67, v28
	v_add_f32_e32 v40, v181, v40
	v_fmac_f32_e32 v194, 0x3f62ad3f, v28
	v_add_f32_e32 v25, v29, v25
	v_fma_f32 v29, v31, s17, -v164
	v_add_f32_e32 v24, v110, v24
	v_fmac_f32_e32 v112, 0xbf788fa5, v28
	v_mul_f32_e32 v163, 0xbf788fa5, v37
	v_fma_f32 v197, v33, s17, -v196
	v_add_f32_e32 v130, v166, v130
	v_fma_f32 v166, v32, s16, -v133
	v_mul_f32_e32 v135, 0x3f7e222b, v135
	v_add_f32_e32 v47, v48, v47
	v_add_f32_e32 v48, v132, v161
	;; [unrolled: 1-line block ×4, first 2 shown]
	v_fmac_f32_e32 v191, 0x3f116cb1, v32
	v_add_f32_e32 v40, v194, v40
	v_fmac_f32_e32 v195, 0x3df6dbef, v32
	v_add_f32_e32 v25, v29, v25
	v_fma_f32 v29, v34, s16, -v137
	v_add_f32_e32 v24, v112, v24
	v_fmac_f32_e32 v133, 0xbf3f9e67, v32
	v_mul_u32_u24_e32 v26, 52, v123
	v_add_f32_e32 v148, v197, v148
	v_mul_f32_e32 v197, 0x3f52af12, v136
	v_add_f32_e32 v130, v166, v130
	v_fma_f32 v166, v33, s6, -v135
	v_mul_f32_e32 v136, 0x3eedf032, v136
	v_add_f32_e32 v47, v48, v47
	v_add_f32_e32 v48, v134, v163
	;; [unrolled: 1-line block ×4, first 2 shown]
	v_fmac_f32_e32 v192, 0xbeb58ec6, v33
	v_add_f32_e32 v40, v195, v40
	v_fmac_f32_e32 v196, 0xbf788fa5, v33
	v_add_f32_e32 v25, v29, v25
	v_fma_f32 v29, v36, s6, -v138
	v_add_f32_e32 v24, v133, v24
	v_fmac_f32_e32 v135, 0x3df6dbef, v33
	v_or_b32_e32 v26, v26, v122
	v_fma_f32 v198, v35, s5, -v197
	v_add_f32_e32 v130, v166, v130
	v_fma_f32 v166, v35, s4, -v136
	v_add_f32_e32 v47, v48, v47
	v_add_f32_e32 v44, v44, v78
	;; [unrolled: 1-line block ×3, first 2 shown]
	v_fmac_f32_e32 v193, 0x3df6dbef, v35
	v_add_f32_e32 v40, v196, v40
	v_fmac_f32_e32 v197, 0x3f116cb1, v35
	v_add_f32_e32 v25, v29, v25
	v_fma_f32 v29, v37, s4, -v139
	v_add_f32_e32 v24, v135, v24
	v_fmac_f32_e32 v136, 0x3f62ad3f, v35
	v_lshl_add_u32 v26, v26, 3, v121
	v_add_f32_e32 v148, v198, v148
	v_add_f32_e32 v130, v166, v130
	;; [unrolled: 1-line block ×6, first 2 shown]
	ds_write2_b64 v26, v[43:44], v[46:47] offset1:4
	ds_write2_b64 v26, v[130:131], v[150:151] offset0:8 offset1:12
	ds_write2_b64 v26, v[148:149], v[146:147] offset0:16 offset1:20
	;; [unrolled: 1-line block ×5, first 2 shown]
	ds_write_b64 v26, v[117:118] offset:384
.LBB0_5:
	s_or_b64 exec, exec, s[0:1]
	s_movk_i32 s0, 0xffcc
	v_add_co_u32_e64 v24, s[0:1], s0, v119
	v_addc_co_u32_e64 v25, s[0:1], 0, -1, s[0:1]
	v_cmp_gt_u16_e64 s[0:1], 52, v119
	v_cndmask_b32_e64 v49, v25, 0, s[0:1]
	v_cndmask_b32_e64 v48, v24, v119, s[0:1]
	v_lshlrev_b64 v[24:25], 3, v[48:49]
	v_mov_b32_e32 v66, s15
	v_add_co_u32_e64 v24, s[0:1], s14, v24
	v_addc_co_u32_e64 v25, s[0:1], v66, v25, s[0:1]
	s_movk_i32 s0, 0x4f
	v_mul_lo_u16_sdwa v26, v53, s0 dst_sel:DWORD dst_unused:UNUSED_PAD src0_sel:BYTE_0 src1_sel:DWORD
	v_mul_lo_u16_sdwa v68, v50, s0 dst_sel:DWORD dst_unused:UNUSED_PAD src0_sel:BYTE_0 src1_sel:DWORD
	s_movk_i32 s0, 0x4ec5
	v_lshrrev_b16_e32 v69, 12, v68
	v_mul_u32_u24_sdwa v71, v52, s0 dst_sel:DWORD dst_unused:UNUSED_PAD src0_sel:WORD_0 src1_sel:DWORD
	v_lshrrev_b16_e32 v49, 12, v26
	v_mul_lo_u16_e32 v28, 52, v69
	v_lshrrev_b32_e32 v72, 20, v71
	v_mul_lo_u16_e32 v26, 52, v49
	v_sub_u16_e32 v70, v50, v28
	v_mul_lo_u16_e32 v28, 52, v72
	v_sub_u16_e32 v67, v53, v26
	v_mov_b32_e32 v26, 3
	v_sub_u16_e32 v73, v52, v28
	s_waitcnt lgkmcnt(0)
	s_barrier
	v_lshlrev_b32_sdwa v27, v26, v67 dst_sel:DWORD dst_unused:UNUSED_PAD src0_sel:DWORD src1_sel:BYTE_0
	v_lshlrev_b32_sdwa v26, v26, v70 dst_sel:DWORD dst_unused:UNUSED_PAD src0_sel:DWORD src1_sel:BYTE_0
	v_lshlrev_b32_e32 v28, 3, v73
	global_load_dwordx2 v[111:112], v[24:25], off offset:400
	global_load_dwordx2 v[109:110], v27, s[14:15] offset:400
	global_load_dwordx2 v[107:108], v26, s[14:15] offset:400
	;; [unrolled: 1-line block ×3, first 2 shown]
	v_mul_u32_u24_sdwa v24, v64, s0 dst_sel:DWORD dst_unused:UNUSED_PAD src0_sel:WORD_0 src1_sel:DWORD
	v_lshrrev_b32_e32 v74, 20, v24
	v_mul_u32_u24_sdwa v25, v65, s0 dst_sel:DWORD dst_unused:UNUSED_PAD src0_sel:WORD_0 src1_sel:DWORD
	v_mul_lo_u16_e32 v24, 52, v74
	v_lshrrev_b32_e32 v76, 20, v25
	v_sub_u16_e32 v75, v64, v24
	v_mul_lo_u16_e32 v25, 52, v76
	v_lshlrev_b32_e32 v24, 3, v75
	v_sub_u16_e32 v77, v65, v25
	global_load_dwordx2 v[115:116], v24, s[14:15] offset:400
	v_lshlrev_b32_e32 v24, 3, v77
	global_load_dwordx2 v[113:114], v24, s[14:15] offset:400
	v_add_u32_e32 v65, 0xc00, v120
	ds_read2_b64 v[32:35], v65 offset0:84 offset1:162
	ds_read2_b64 v[24:27], v120 offset1:78
	v_cmp_lt_u16_e64 s[0:1], 51, v119
	v_add_u32_e32 v140, 0x1000, v120
	ds_read2_b64 v[28:31], v120 offset0:156 offset1:234
	v_add_u32_e32 v141, 0x800, v120
	v_add_u32_e32 v64, 0x1800, v120
	ds_read2_b64 v[36:39], v140 offset0:112 offset1:190
	ds_read2_b64 v[40:43], v141 offset0:56 offset1:134
	;; [unrolled: 1-line block ×3, first 2 shown]
	s_waitcnt vmcnt(0) lgkmcnt(0)
	s_barrier
	s_movk_i32 s4, 0x68
	v_lshlrev_b32_e32 v55, 3, v55
	v_mul_f32_e32 v78, v33, v112
	v_mul_f32_e32 v79, v32, v112
	v_fma_f32 v32, v32, v111, -v78
	v_mov_b32_e32 v78, 0x68
	v_fmac_f32_e32 v79, v33, v111
	v_cndmask_b32_e64 v78, 0, v78, s[0:1]
	v_mul_f32_e32 v130, v35, v110
	v_sub_f32_e32 v32, v24, v32
	v_sub_f32_e32 v33, v25, v79
	v_add_u32_e32 v48, v48, v78
	v_mul_f32_e32 v131, v34, v110
	v_fma_f32 v34, v34, v109, -v130
	v_fma_f32 v24, v24, 2.0, -v32
	v_fma_f32 v25, v25, 2.0, -v33
	v_lshl_add_u32 v130, v48, 3, v121
	ds_write2_b64 v130, v[24:25], v[32:33] offset1:52
	v_mul_u32_u24_e32 v24, 0x68, v49
	v_mul_f32_e32 v132, v37, v108
	v_mul_f32_e32 v133, v36, v108
	v_fmac_f32_e32 v131, v35, v109
	v_add_u32_sdwa v24, v24, v67 dst_sel:DWORD dst_unused:UNUSED_PAD src0_sel:DWORD src1_sel:BYTE_0
	v_fma_f32 v36, v36, v107, -v132
	v_fmac_f32_e32 v133, v37, v107
	v_sub_f32_e32 v35, v27, v131
	v_lshl_add_u32 v131, v24, 3, v121
	v_mul_u32_u24_e32 v24, 0x68, v69
	v_sub_f32_e32 v34, v26, v34
	v_sub_f32_e32 v36, v28, v36
	;; [unrolled: 1-line block ×3, first 2 shown]
	v_add_u32_sdwa v24, v24, v70 dst_sel:DWORD dst_unused:UNUSED_PAD src0_sel:DWORD src1_sel:BYTE_0
	v_fma_f32 v26, v26, 2.0, -v34
	v_fma_f32 v27, v27, 2.0, -v35
	;; [unrolled: 1-line block ×4, first 2 shown]
	v_lshl_add_u32 v132, v24, 3, v121
	s_movk_i32 s0, 0xffe6
	ds_write2_b64 v131, v[26:27], v[34:35] offset1:52
	ds_write2_b64 v132, v[28:29], v[36:37] offset1:52
	v_add_co_u32_e64 v28, s[0:1], s0, v119
	v_addc_co_u32_e64 v29, s[0:1], 0, -1, s[0:1]
	v_mul_f32_e32 v134, v39, v106
	v_mul_f32_e32 v135, v38, v106
	v_mul_f32_e32 v136, v45, v116
	v_mul_f32_e32 v137, v44, v116
	v_mul_f32_e32 v138, v47, v114
	v_mul_f32_e32 v139, v46, v114
	v_mad_legacy_u16 v24, v72, s4, v73
	v_cmp_gt_u16_e64 s[0:1], 26, v119
	v_fma_f32 v38, v38, v105, -v134
	v_fmac_f32_e32 v135, v39, v105
	v_fma_f32 v44, v44, v115, -v136
	v_fmac_f32_e32 v137, v45, v115
	;; [unrolled: 2-line block ×3, first 2 shown]
	v_lshl_add_u32 v133, v24, 3, v121
	v_mad_legacy_u16 v24, v74, s4, v75
	v_cndmask_b32_e64 v49, v29, v54, s[0:1]
	v_cndmask_b32_e64 v48, v28, v53, s[0:1]
	v_sub_f32_e32 v38, v30, v38
	v_sub_f32_e32 v39, v31, v135
	;; [unrolled: 1-line block ×6, first 2 shown]
	v_lshl_add_u32 v134, v24, 3, v121
	v_mad_legacy_u16 v24, v76, s4, v77
	v_lshlrev_b64 v[28:29], 4, v[48:49]
	v_fma_f32 v30, v30, 2.0, -v38
	v_fma_f32 v31, v31, 2.0, -v39
	;; [unrolled: 1-line block ×6, first 2 shown]
	v_lshl_add_u32 v135, v24, 3, v121
	ds_write2_b64 v133, v[30:31], v[38:39] offset1:52
	ds_write2_b64 v134, v[40:41], v[44:45] offset1:52
	;; [unrolled: 1-line block ×3, first 2 shown]
	s_waitcnt lgkmcnt(0)
	s_barrier
	global_load_dwordx4 v[24:27], v55, s[14:15] offset:816
	v_add_co_u32_e64 v28, s[0:1], s14, v28
	v_lshrrev_b16_e32 v49, 13, v68
	v_lshrrev_b32_e32 v36, 21, v71
	v_addc_co_u32_e64 v29, s[0:1], v66, v29, s[0:1]
	v_mul_lo_u16_e32 v32, 0x68, v49
	v_mul_lo_u16_e32 v36, 0x68, v36
	global_load_dwordx4 v[28:31], v[28:29], off offset:816
	v_sub_u16_e32 v142, v50, v32
	v_mov_b32_e32 v32, 4
	v_sub_u16_e32 v143, v52, v36
	v_lshlrev_b32_sdwa v32, v32, v142 dst_sel:DWORD dst_unused:UNUSED_PAD src0_sel:DWORD src1_sel:BYTE_0
	v_lshlrev_b16_e32 v36, 4, v143
	global_load_dwordx4 v[32:35], v32, s[14:15] offset:816
	v_add_co_u32_e64 v36, s[0:1], s14, v36
	v_addc_co_u32_e64 v37, s[0:1], 0, v66, s[0:1]
	global_load_dwordx4 v[36:39], v[36:37], off offset:816
	ds_read2_b64 v[40:43], v120 offset1:78
	ds_read2_b64 v[44:47], v141 offset0:56 offset1:134
	ds_read2_b64 v[66:69], v140 offset0:112 offset1:190
	ds_read2_b64 v[70:73], v120 offset0:156 offset1:234
	ds_read2_b64 v[74:77], v65 offset0:84 offset1:162
	ds_read2_b64 v[136:139], v64 offset0:12 offset1:90
	s_waitcnt vmcnt(0) lgkmcnt(0)
	s_barrier
	v_cmp_lt_u16_e64 s[0:1], 25, v119
	v_lshlrev_b32_e32 v52, 4, v52
	s_movk_i32 s4, 0x1000
	v_mul_f32_e32 v53, v45, v25
	v_fma_f32 v53, v44, v24, -v53
	v_mul_f32_e32 v54, v44, v25
	v_mul_f32_e32 v44, v67, v27
	v_fma_f32 v78, v66, v26, -v44
	v_mul_f32_e32 v66, v66, v27
	v_fmac_f32_e32 v66, v67, v26
	v_fmac_f32_e32 v54, v45, v24
	v_add_f32_e32 v45, v53, v78
	v_mul_f32_e32 v44, v47, v29
	v_fma_f32 v67, v46, v28, -v44
	v_mul_f32_e32 v44, v69, v31
	v_fma_f32 v144, v68, v30, -v44
	v_mul_f32_e32 v79, v46, v29
	v_fmac_f32_e32 v79, v47, v28
	v_mul_f32_e32 v44, v75, v33
	v_fma_f32 v145, v74, v32, -v44
	v_mul_f32_e32 v146, v74, v33
	v_mul_f32_e32 v44, v137, v35
	v_fmac_f32_e32 v146, v75, v32
	v_fma_f32 v75, v136, v34, -v44
	v_mul_f32_e32 v136, v136, v35
	v_mul_f32_e32 v44, v77, v37
	v_fmac_f32_e32 v136, v137, v34
	v_fma_f32 v137, v76, v36, -v44
	v_mul_f32_e32 v44, v139, v39
	v_fma_f32 v148, v138, v38, -v44
	v_add_f32_e32 v44, v40, v53
	v_fma_f32 v40, -0.5, v45, v40
	v_sub_f32_e32 v45, v54, v66
	v_mov_b32_e32 v46, v40
	v_add_f32_e32 v47, v54, v66
	v_fmac_f32_e32 v46, 0x3f5db3d7, v45
	v_fmac_f32_e32 v40, 0xbf5db3d7, v45
	v_add_f32_e32 v45, v41, v54
	v_fma_f32 v41, -0.5, v47, v41
	v_mul_f32_e32 v68, v68, v31
	v_sub_f32_e32 v53, v53, v78
	v_mov_b32_e32 v47, v41
	v_add_f32_e32 v54, v67, v144
	v_fmac_f32_e32 v68, v69, v30
	v_fmac_f32_e32 v47, 0xbf5db3d7, v53
	;; [unrolled: 1-line block ×3, first 2 shown]
	v_add_f32_e32 v53, v42, v67
	v_fma_f32 v42, -0.5, v54, v42
	v_add_f32_e32 v45, v45, v66
	v_sub_f32_e32 v54, v79, v68
	v_mov_b32_e32 v66, v42
	v_fmac_f32_e32 v66, 0x3f5db3d7, v54
	v_fmac_f32_e32 v42, 0xbf5db3d7, v54
	v_add_f32_e32 v54, v43, v79
	v_add_f32_e32 v54, v54, v68
	;; [unrolled: 1-line block ×3, first 2 shown]
	v_fmac_f32_e32 v43, -0.5, v68
	v_sub_f32_e32 v68, v67, v144
	v_mov_b32_e32 v67, v43
	v_add_f32_e32 v69, v145, v75
	v_fmac_f32_e32 v67, 0xbf5db3d7, v68
	v_fmac_f32_e32 v43, 0x3f5db3d7, v68
	v_add_f32_e32 v68, v70, v145
	v_fma_f32 v70, -0.5, v69, v70
	v_mul_f32_e32 v147, v76, v37
	v_sub_f32_e32 v69, v146, v136
	v_mov_b32_e32 v74, v70
	v_add_f32_e32 v76, v146, v136
	v_fmac_f32_e32 v74, 0x3f5db3d7, v69
	v_fmac_f32_e32 v70, 0xbf5db3d7, v69
	v_add_f32_e32 v69, v71, v146
	v_fma_f32 v71, -0.5, v76, v71
	v_fmac_f32_e32 v147, v77, v36
	v_mul_f32_e32 v138, v138, v39
	v_add_f32_e32 v68, v68, v75
	v_sub_f32_e32 v76, v145, v75
	v_mov_b32_e32 v75, v71
	v_add_f32_e32 v77, v137, v148
	v_fmac_f32_e32 v138, v139, v38
	v_add_f32_e32 v44, v44, v78
	v_fmac_f32_e32 v75, 0xbf5db3d7, v76
	v_fmac_f32_e32 v71, 0x3f5db3d7, v76
	v_add_f32_e32 v76, v72, v137
	v_fma_f32 v72, -0.5, v77, v72
	v_sub_f32_e32 v77, v147, v138
	v_mov_b32_e32 v78, v72
	v_add_f32_e32 v79, v147, v138
	ds_write2_b64 v120, v[44:45], v[46:47] offset1:104
	ds_write_b64 v120, v[40:41] offset:1664
	v_mov_b32_e32 v40, 0x138
	v_fmac_f32_e32 v78, 0x3f5db3d7, v77
	v_fmac_f32_e32 v72, 0xbf5db3d7, v77
	v_add_f32_e32 v77, v73, v147
	v_fmac_f32_e32 v73, -0.5, v79
	v_cndmask_b32_e64 v40, 0, v40, s[0:1]
	v_add_f32_e32 v69, v69, v136
	v_sub_f32_e32 v136, v137, v148
	v_mov_b32_e32 v79, v73
	v_add_u32_e32 v40, v48, v40
	v_fmac_f32_e32 v79, 0xbf5db3d7, v136
	v_fmac_f32_e32 v73, 0x3f5db3d7, v136
	v_lshl_add_u32 v136, v40, 3, v121
	v_mul_u32_u24_e32 v40, 0x138, v49
	v_add_f32_e32 v77, v77, v138
	v_add_u32_sdwa v40, v40, v142 dst_sel:DWORD dst_unused:UNUSED_PAD src0_sel:DWORD src1_sel:BYTE_0
	v_lshl_add_u32 v138, v143, 3, v121
	v_add_f32_e32 v53, v53, v144
	v_add_f32_e32 v76, v76, v148
	v_lshl_add_u32 v137, v40, 3, v121
	v_add_u32_e32 v40, 0x1000, v138
	ds_write2_b64 v136, v[53:54], v[66:67] offset1:104
	ds_write_b64 v136, v[42:43] offset:1664
	ds_write2_b64 v137, v[68:69], v[74:75] offset1:104
	ds_write_b64 v137, v[70:71] offset:1664
	ds_write2_b64 v40, v[76:77], v[78:79] offset0:112 offset1:216
	ds_write_b64 v138, v[72:73] offset:6656
	s_waitcnt lgkmcnt(0)
	s_barrier
	global_load_dwordx4 v[40:43], v55, s[14:15] offset:2480
	v_lshlrev_b32_e32 v44, 3, v51
	global_load_dwordx4 v[44:47], v44, s[14:15] offset:2480
	v_lshlrev_b32_e32 v48, 4, v50
	;; [unrolled: 2-line block ×3, first 2 shown]
	global_load_dwordx4 v[52:55], v52, s[14:15] offset:2480
	v_mov_b32_e32 v67, s13
	v_add_co_u32_e64 v154, s[0:1], s12, v66
	v_addc_co_u32_e64 v155, s[0:1], 0, v67, s[0:1]
	ds_read2_b64 v[66:69], v120 offset1:78
	ds_read2_b64 v[70:73], v141 offset0:56 offset1:134
	ds_read2_b64 v[74:77], v140 offset0:112 offset1:190
	;; [unrolled: 1-line block ×5, first 2 shown]
	s_movk_i32 s0, 0x1d40
	s_waitcnt vmcnt(3) lgkmcnt(4)
	v_mul_f32_e32 v78, v71, v41
	v_fma_f32 v78, v70, v40, -v78
	v_mul_f32_e32 v79, v70, v41
	s_waitcnt lgkmcnt(3)
	v_mul_f32_e32 v70, v75, v43
	v_fma_f32 v139, v74, v42, -v70
	s_waitcnt vmcnt(2)
	v_mul_f32_e32 v70, v73, v45
	v_fma_f32 v156, v72, v44, -v70
	v_mul_f32_e32 v70, v77, v47
	v_fma_f32 v158, v76, v46, -v70
	s_waitcnt vmcnt(1) lgkmcnt(1)
	v_mul_f32_e32 v70, v147, v49
	v_fma_f32 v160, v146, v48, -v70
	v_mul_f32_e32 v161, v146, v49
	s_waitcnt lgkmcnt(0)
	v_mul_f32_e32 v70, v151, v51
	v_fmac_f32_e32 v161, v147, v48
	v_fma_f32 v147, v150, v50, -v70
	v_mul_f32_e32 v150, v150, v51
	s_waitcnt vmcnt(0)
	v_mul_f32_e32 v70, v149, v53
	v_fmac_f32_e32 v79, v71, v40
	v_mul_f32_e32 v74, v74, v43
	v_fmac_f32_e32 v150, v151, v50
	v_fma_f32 v151, v148, v52, -v70
	v_mul_f32_e32 v70, v153, v55
	v_add_f32_e32 v71, v78, v139
	v_fmac_f32_e32 v74, v75, v42
	v_mul_f32_e32 v157, v72, v45
	v_fma_f32 v163, v152, v54, -v70
	v_add_f32_e32 v70, v66, v78
	v_fma_f32 v66, -0.5, v71, v66
	v_fmac_f32_e32 v157, v73, v44
	v_sub_f32_e32 v71, v79, v74
	v_mov_b32_e32 v72, v66
	v_add_f32_e32 v73, v79, v74
	v_fmac_f32_e32 v72, 0x3f5db3d7, v71
	v_fmac_f32_e32 v66, 0xbf5db3d7, v71
	v_add_f32_e32 v71, v67, v79
	v_fma_f32 v67, -0.5, v73, v67
	v_mul_f32_e32 v159, v76, v47
	v_add_f32_e32 v71, v71, v74
	v_sub_f32_e32 v74, v78, v139
	v_mov_b32_e32 v73, v67
	v_add_f32_e32 v75, v156, v158
	v_fmac_f32_e32 v159, v77, v46
	v_fmac_f32_e32 v73, 0xbf5db3d7, v74
	v_fmac_f32_e32 v67, 0x3f5db3d7, v74
	v_add_f32_e32 v74, v68, v156
	v_fma_f32 v68, -0.5, v75, v68
	v_sub_f32_e32 v75, v157, v159
	v_mov_b32_e32 v76, v68
	v_add_f32_e32 v77, v157, v159
	v_fmac_f32_e32 v76, 0x3f5db3d7, v75
	v_fmac_f32_e32 v68, 0xbf5db3d7, v75
	v_add_f32_e32 v75, v69, v157
	v_fmac_f32_e32 v69, -0.5, v77
	v_sub_f32_e32 v78, v156, v158
	v_mov_b32_e32 v77, v69
	v_add_f32_e32 v79, v160, v147
	v_fmac_f32_e32 v77, 0xbf5db3d7, v78
	v_fmac_f32_e32 v69, 0x3f5db3d7, v78
	v_add_f32_e32 v78, v142, v160
	v_fma_f32 v142, -0.5, v79, v142
	v_add_f32_e32 v70, v70, v139
	v_sub_f32_e32 v79, v161, v150
	v_mov_b32_e32 v146, v142
	v_add_f32_e32 v139, v161, v150
	v_fmac_f32_e32 v146, 0x3f5db3d7, v79
	v_fmac_f32_e32 v142, 0xbf5db3d7, v79
	v_add_f32_e32 v79, v143, v161
	v_fma_f32 v143, -0.5, v139, v143
	v_add_f32_e32 v78, v78, v147
	v_sub_f32_e32 v139, v160, v147
	v_mov_b32_e32 v147, v143
	v_fmac_f32_e32 v147, 0xbf5db3d7, v139
	v_fmac_f32_e32 v143, 0x3f5db3d7, v139
	v_add_f32_e32 v139, v144, v151
	v_mul_f32_e32 v162, v148, v53
	v_mul_f32_e32 v152, v152, v55
	v_add_f32_e32 v148, v139, v163
	v_add_f32_e32 v139, v151, v163
	v_fmac_f32_e32 v162, v149, v52
	v_fmac_f32_e32 v152, v153, v54
	v_fma_f32 v144, -0.5, v139, v144
	v_add_f32_e32 v79, v79, v150
	v_sub_f32_e32 v139, v162, v152
	v_mov_b32_e32 v150, v144
	v_fmac_f32_e32 v150, 0x3f5db3d7, v139
	v_fmac_f32_e32 v144, 0xbf5db3d7, v139
	v_add_f32_e32 v139, v145, v162
	v_add_f32_e32 v149, v139, v152
	;; [unrolled: 1-line block ×3, first 2 shown]
	v_fmac_f32_e32 v145, -0.5, v139
	v_sub_f32_e32 v139, v151, v163
	v_mov_b32_e32 v151, v145
	v_fmac_f32_e32 v151, 0xbf5db3d7, v139
	v_fmac_f32_e32 v145, 0x3f5db3d7, v139
	v_lshl_add_u32 v139, v119, 3, v121
	v_add_f32_e32 v74, v74, v158
	v_add_f32_e32 v75, v75, v159
	ds_write_b64 v120, v[72:73] offset:2496
	ds_write_b64 v139, v[66:67] offset:4992
	ds_write2_b64 v120, v[70:71], v[74:75] offset1:78
	ds_write_b64 v139, v[76:77] offset:3120
	ds_write_b64 v139, v[68:69] offset:5616
	ds_write2_b64 v120, v[78:79], v[148:149] offset0:156 offset1:234
	ds_write2_b64 v65, v[146:147], v[150:151] offset0:84 offset1:162
	;; [unrolled: 1-line block ×3, first 2 shown]
	v_add_co_u32_e64 v66, s[0:1], s0, v154
	v_addc_co_u32_e64 v67, s[0:1], 0, v155, s[0:1]
	v_add_co_u32_e64 v68, s[0:1], s4, v154
	v_addc_co_u32_e64 v69, s[0:1], 0, v155, s[0:1]
	s_waitcnt lgkmcnt(0)
	s_barrier
	global_load_dwordx2 v[74:75], v[68:69], off offset:3392
	s_movk_i32 s0, 0x2000
	v_add_co_u32_e64 v68, s[0:1], s0, v154
	v_addc_co_u32_e64 v69, s[0:1], 0, v155, s[0:1]
	global_load_dwordx2 v[76:77], v[68:69], off offset:3664
	global_load_dwordx2 v[78:79], v[66:67], off offset:3744
	;; [unrolled: 1-line block ×4, first 2 shown]
	s_movk_i32 s0, 0x3000
	v_add_co_u32_e64 v68, s[0:1], s0, v154
	v_addc_co_u32_e64 v69, s[0:1], 0, v155, s[0:1]
	global_load_dwordx2 v[146:147], v[68:69], off offset:192
	global_load_dwordx2 v[148:149], v[66:67], off offset:1872
	;; [unrolled: 1-line block ×7, first 2 shown]
	ds_read2_b64 v[66:69], v120 offset1:78
	ds_read2_b64 v[70:73], v65 offset0:84 offset1:162
	s_waitcnt vmcnt(11) lgkmcnt(1)
	v_mul_f32_e32 v160, v67, v75
	v_fma_f32 v160, v66, v74, -v160
	v_mul_f32_e32 v161, v66, v75
	v_fmac_f32_e32 v161, v67, v74
	s_waitcnt vmcnt(9) lgkmcnt(0)
	v_mul_f32_e32 v66, v71, v79
	v_fma_f32 v74, v70, v78, -v66
	s_waitcnt vmcnt(8)
	v_mul_f32_e32 v66, v69, v143
	v_mul_f32_e32 v67, v68, v143
	v_mul_f32_e32 v75, v70, v79
	v_fma_f32 v66, v68, v142, -v66
	v_fmac_f32_e32 v67, v69, v142
	v_fmac_f32_e32 v75, v71, v78
	ds_write2_b64 v120, v[160:161], v[66:67] offset1:78
	v_mul_f32_e32 v66, v73, v77
	v_mul_f32_e32 v71, v72, v77
	v_fma_f32 v70, v72, v76, -v66
	ds_read2_b64 v[66:69], v120 offset0:156 offset1:234
	v_fmac_f32_e32 v71, v73, v76
	ds_write2_b64 v65, v[74:75], v[70:71] offset0:84 offset1:162
	ds_read2_b64 v[70:73], v140 offset0:112 offset1:190
	s_waitcnt vmcnt(7) lgkmcnt(2)
	v_mul_f32_e32 v74, v67, v145
	v_fma_f32 v74, v66, v144, -v74
	v_mul_f32_e32 v75, v66, v145
	s_waitcnt vmcnt(6) lgkmcnt(0)
	v_mul_f32_e32 v66, v71, v147
	v_fmac_f32_e32 v75, v67, v144
	v_fma_f32 v76, v70, v146, -v66
	s_waitcnt vmcnt(5)
	v_mul_f32_e32 v66, v69, v149
	v_mul_f32_e32 v67, v68, v149
	;; [unrolled: 1-line block ×3, first 2 shown]
	v_fma_f32 v66, v68, v148, -v66
	v_fmac_f32_e32 v67, v69, v148
	v_fmac_f32_e32 v77, v71, v146
	ds_write2_b64 v120, v[74:75], v[66:67] offset0:156 offset1:234
	s_waitcnt vmcnt(4)
	v_mul_f32_e32 v66, v73, v151
	v_mul_f32_e32 v71, v72, v151
	v_fma_f32 v70, v72, v150, -v66
	ds_read2_b64 v[66:69], v141 offset0:56 offset1:134
	v_fmac_f32_e32 v71, v73, v150
	ds_write2_b64 v140, v[76:77], v[70:71] offset0:112 offset1:190
	ds_read2_b64 v[70:73], v64 offset0:12 offset1:90
	s_waitcnt vmcnt(3) lgkmcnt(2)
	v_mul_f32_e32 v74, v67, v153
	v_mul_f32_e32 v75, v66, v153
	v_fma_f32 v74, v66, v152, -v74
	v_fmac_f32_e32 v75, v67, v152
	s_waitcnt vmcnt(2) lgkmcnt(0)
	v_mul_f32_e32 v66, v71, v155
	v_mul_f32_e32 v67, v70, v155
	v_fma_f32 v66, v70, v154, -v66
	v_fmac_f32_e32 v67, v71, v154
	s_waitcnt vmcnt(1)
	v_mul_f32_e32 v70, v69, v157
	v_mul_f32_e32 v71, v68, v157
	v_fma_f32 v70, v68, v156, -v70
	v_fmac_f32_e32 v71, v69, v156
	s_waitcnt vmcnt(0)
	v_mul_f32_e32 v68, v73, v159
	v_mul_f32_e32 v69, v72, v159
	v_fma_f32 v68, v72, v158, -v68
	v_fmac_f32_e32 v69, v73, v158
	ds_write2_b64 v141, v[74:75], v[70:71] offset0:56 offset1:134
	ds_write2_b64 v64, v[66:67], v[68:69] offset0:12 offset1:90
	s_waitcnt lgkmcnt(0)
	s_barrier
	ds_read2_b64 v[66:69], v120 offset1:78
	ds_read2_b64 v[70:73], v65 offset0:84 offset1:162
	ds_read2_b64 v[74:77], v120 offset0:156 offset1:234
	;; [unrolled: 1-line block ×5, first 2 shown]
	s_waitcnt lgkmcnt(4)
	v_sub_f32_e32 v156, v66, v70
	v_sub_f32_e32 v157, v67, v71
	s_waitcnt lgkmcnt(2)
	v_sub_f32_e32 v160, v74, v142
	v_sub_f32_e32 v161, v75, v143
	v_sub_f32_e32 v70, v68, v72
	v_fma_f32 v158, v74, 2.0, -v160
	v_fma_f32 v159, v75, 2.0, -v161
	v_sub_f32_e32 v74, v76, v144
	v_sub_f32_e32 v75, v77, v145
	s_waitcnt lgkmcnt(0)
	v_sub_f32_e32 v78, v146, v150
	v_sub_f32_e32 v79, v147, v151
	;; [unrolled: 1-line block ×4, first 2 shown]
	v_fma_f32 v154, v66, 2.0, -v156
	v_fma_f32 v155, v67, 2.0, -v157
	v_sub_f32_e32 v71, v69, v73
	v_fma_f32 v68, v68, 2.0, -v70
	v_fma_f32 v72, v76, 2.0, -v74
	;; [unrolled: 1-line block ×8, first 2 shown]
	s_barrier
	ds_write_b128 v58, v[154:157]
	ds_write_b128 v59, v[68:71]
	;; [unrolled: 1-line block ×6, first 2 shown]
	s_waitcnt lgkmcnt(0)
	s_barrier
	ds_read2_b64 v[60:63], v120 offset1:78
	ds_read2_b64 v[65:68], v65 offset0:84 offset1:162
	ds_read2_b64 v[72:75], v120 offset0:156 offset1:234
	;; [unrolled: 1-line block ×5, first 2 shown]
	s_waitcnt lgkmcnt(4)
	v_mul_f32_e32 v59, v57, v65
	v_mul_f32_e32 v58, v57, v66
	v_fma_f32 v59, v56, v66, -v59
	v_mul_f32_e32 v64, v57, v68
	s_waitcnt lgkmcnt(2)
	v_mul_f32_e32 v66, v57, v77
	v_fmac_f32_e32 v58, v56, v65
	v_fmac_f32_e32 v64, v56, v67
	v_mul_f32_e32 v65, v57, v67
	v_fmac_f32_e32 v66, v56, v76
	v_mul_f32_e32 v67, v57, v76
	v_mul_f32_e32 v76, v57, v79
	v_fma_f32 v65, v56, v68, -v65
	v_fmac_f32_e32 v76, v56, v78
	v_mul_f32_e32 v68, v57, v78
	s_waitcnt lgkmcnt(0)
	v_mul_f32_e32 v78, v57, v147
	v_fma_f32 v67, v56, v77, -v67
	v_fma_f32 v77, v56, v79, -v68
	v_fmac_f32_e32 v78, v56, v146
	v_mul_f32_e32 v68, v57, v146
	v_mul_f32_e32 v146, v57, v149
	;; [unrolled: 1-line block ×3, first 2 shown]
	v_sub_f32_e32 v70, v62, v64
	v_sub_f32_e32 v71, v63, v65
	v_fma_f32 v79, v56, v147, -v68
	v_fmac_f32_e32 v146, v56, v148
	v_fma_f32 v147, v56, v149, -v57
	v_sub_f32_e32 v58, v60, v58
	v_sub_f32_e32 v59, v61, v59
	v_fma_f32 v68, v62, 2.0, -v70
	v_fma_f32 v69, v63, 2.0, -v71
	v_sub_f32_e32 v62, v74, v76
	v_sub_f32_e32 v63, v75, v77
	v_fma_f32 v56, v60, 2.0, -v58
	v_fma_f32 v57, v61, 2.0, -v59
	;; [unrolled: 4-line block ×3, first 2 shown]
	v_sub_f32_e32 v74, v142, v78
	v_sub_f32_e32 v75, v143, v79
	;; [unrolled: 1-line block ×4, first 2 shown]
	v_fma_f32 v64, v72, 2.0, -v66
	v_fma_f32 v65, v73, 2.0, -v67
	;; [unrolled: 1-line block ×6, first 2 shown]
	s_barrier
	ds_write2_b64 v124, v[56:57], v[58:59] offset1:2
	ds_write2_b64 v125, v[68:69], v[70:71] offset1:2
	;; [unrolled: 1-line block ×6, first 2 shown]
	s_waitcnt lgkmcnt(0)
	s_barrier
	s_and_saveexec_b64 s[0:1], vcc
	s_cbranch_execz .LBB0_7
; %bb.6:
	ds_read2_b64 v[56:59], v120 offset1:72
	ds_read2_b64 v[68:71], v120 offset0:144 offset1:216
	ds_read2_b64 v[64:67], v141 offset0:32 offset1:104
	;; [unrolled: 1-line block ×4, first 2 shown]
	v_add_u32_e32 v76, 0x1400, v120
	ds_read2_b64 v[76:79], v76 offset0:80 offset1:152
	ds_read_b64 v[117:118], v120 offset:6912
.LBB0_7:
	s_or_b64 exec, exec, s[0:1]
	v_add_u32_e32 v125, 0x4e0, v120
	v_add_u32_e32 v124, 0x750, v120
	s_waitcnt lgkmcnt(0)
	s_barrier
	s_and_saveexec_b64 s[0:1], vcc
	s_cbranch_execz .LBB0_9
; %bb.8:
	v_mul_f32_e32 v127, v13, v59
	v_mul_f32_e32 v128, v23, v118
	v_fmac_f32_e32 v127, v12, v58
	v_fmac_f32_e32 v128, v22, v117
	v_sub_f32_e32 v126, v127, v128
	v_mul_f32_e32 v23, v23, v117
	v_mul_f32_e32 v13, v13, v58
	;; [unrolled: 1-line block ×3, first 2 shown]
	v_fma_f32 v22, v22, v118, -v23
	v_fma_f32 v23, v12, v59, -v13
	v_add_f32_e32 v58, v22, v23
	v_mov_b32_e32 v12, v129
	v_mul_f32_e32 v59, v15, v69
	v_mul_f32_e32 v117, v21, v79
	v_fmac_f32_e32 v12, 0x3df6dbef, v58
	v_fmac_f32_e32 v59, v14, v68
	;; [unrolled: 1-line block ×3, first 2 shown]
	v_add_f32_e32 v13, v57, v12
	v_sub_f32_e32 v12, v59, v117
	v_mul_f32_e32 v21, v21, v78
	v_mul_f32_e32 v15, v15, v68
	;; [unrolled: 1-line block ×3, first 2 shown]
	v_fma_f32 v20, v20, v79, -v21
	v_fma_f32 v21, v14, v69, -v15
	v_mul_f32_e32 v68, v9, v71
	v_mul_f32_e32 v69, v19, v77
	v_add_f32_e32 v15, v20, v21
	v_mov_b32_e32 v14, v118
	v_fmac_f32_e32 v68, v8, v70
	v_fmac_f32_e32 v69, v18, v76
	v_mul_f32_e32 v19, v19, v76
	v_mul_f32_e32 v9, v9, v70
	v_fmac_f32_e32 v14, 0xbf788fa5, v15
	v_sub_f32_e32 v78, v68, v69
	v_fma_f32 v18, v18, v77, -v19
	v_fma_f32 v19, v8, v71, -v9
	v_mul_f32_e32 v9, v17, v74
	v_add_f32_e32 v13, v14, v13
	v_mul_f32_e32 v14, 0x3f6f5d39, v78
	v_mul_f32_e32 v71, v11, v65
	;; [unrolled: 1-line block ×3, first 2 shown]
	v_fma_f32 v17, v16, v75, -v9
	v_mul_f32_e32 v9, v11, v64
	v_add_f32_e32 v70, v18, v19
	v_mov_b32_e32 v8, v14
	v_fmac_f32_e32 v71, v10, v64
	v_fmac_f32_e32 v76, v16, v74
	v_fma_f32 v64, v10, v65, -v9
	v_mul_f32_e32 v65, v1, v67
	v_mul_f32_e32 v74, v7, v73
	;; [unrolled: 1-line block ×3, first 2 shown]
	v_fmac_f32_e32 v8, 0xbeb58ec6, v70
	v_sub_f32_e32 v77, v71, v76
	v_fmac_f32_e32 v65, v0, v66
	v_fmac_f32_e32 v74, v6, v72
	v_fma_f32 v72, v6, v73, -v7
	v_mul_f32_e32 v1, v1, v66
	v_mul_f32_e32 v73, v3, v61
	;; [unrolled: 1-line block ×3, first 2 shown]
	v_add_f32_e32 v8, v8, v13
	v_mul_f32_e32 v13, 0x3eedf032, v77
	v_sub_f32_e32 v75, v65, v74
	v_fma_f32 v66, v0, v67, -v1
	v_fmac_f32_e32 v73, v2, v60
	v_fmac_f32_e32 v79, v4, v62
	v_mul_f32_e32 v1, v5, v62
	v_add_f32_e32 v16, v17, v64
	v_mov_b32_e32 v9, v13
	v_mul_f32_e32 v10, 0xbf52af12, v75
	v_sub_f32_e32 v140, v73, v79
	v_fma_f32 v62, v4, v63, -v1
	v_mul_f32_e32 v1, v3, v60
	v_fmac_f32_e32 v9, 0x3f62ad3f, v16
	v_add_f32_e32 v67, v72, v66
	v_mov_b32_e32 v0, v10
	v_mul_f32_e32 v11, 0xbf29c268, v140
	v_fma_f32 v60, v2, v61, -v1
	v_add_f32_e32 v8, v9, v8
	v_fmac_f32_e32 v0, 0x3f116cb1, v67
	v_add_f32_e32 v61, v62, v60
	v_mov_b32_e32 v1, v11
	v_sub_f32_e32 v141, v23, v22
	s_mov_b32 s4, 0x3df6dbef
	v_add_f32_e32 v0, v0, v8
	v_fmac_f32_e32 v1, 0xbf3f9e67, v61
	v_add_f32_e32 v63, v128, v127
	v_mul_f32_e32 v142, 0xbf7e222b, v141
	v_sub_f32_e32 v144, v21, v20
	s_mov_b32 s5, 0xbf788fa5
	v_add_f32_e32 v1, v1, v0
	v_fma_f32 v0, v63, s4, -v142
	v_add_f32_e32 v143, v117, v59
	v_mul_f32_e32 v145, 0xbe750f2a, v144
	v_sub_f32_e32 v147, v19, v18
	s_mov_b32 s6, 0xbeb58ec6
	v_add_f32_e32 v0, v56, v0
	v_fma_f32 v2, v143, s5, -v145
	;; [unrolled: 6-line block ×5, first 2 shown]
	v_add_f32_e32 v155, v79, v73
	v_mul_f32_e32 v157, 0xbf29c268, v156
	v_add_f32_e32 v0, v2, v0
	v_fma_f32 v2, v155, s13, -v157
	v_mul_f32_e32 v6, 0xbf29c268, v126
	v_add_f32_e32 v0, v2, v0
	v_mov_b32_e32 v2, v6
	v_mul_f32_e32 v7, 0x3f7e222b, v12
	v_fmac_f32_e32 v2, 0xbf3f9e67, v58
	v_mov_b32_e32 v3, v7
	v_add_f32_e32 v2, v57, v2
	v_fmac_f32_e32 v3, 0x3df6dbef, v15
	v_mul_f32_e32 v8, 0xbf52af12, v78
	v_add_f32_e32 v2, v3, v2
	v_mov_b32_e32 v3, v8
	v_fmac_f32_e32 v3, 0x3f116cb1, v70
	v_mul_f32_e32 v9, 0x3e750f2a, v77
	v_add_f32_e32 v2, v3, v2
	v_mov_b32_e32 v3, v9
	;; [unrolled: 4-line block ×4, first 2 shown]
	v_fmac_f32_e32 v3, 0xbeb58ec6, v61
	v_mul_f32_e32 v160, 0xbf29c268, v141
	v_add_f32_e32 v3, v3, v2
	v_fma_f32 v2, v63, s13, -v160
	v_mul_f32_e32 v161, 0x3f7e222b, v144
	v_add_f32_e32 v2, v56, v2
	v_fma_f32 v4, v143, s4, -v161
	;; [unrolled: 3-line block ×6, first 2 shown]
	v_mul_f32_e32 v166, 0xbf788fa5, v58
	v_add_f32_e32 v2, v4, v2
	v_mov_b32_e32 v4, v166
	v_mul_f32_e32 v167, 0x3f62ad3f, v15
	v_fmac_f32_e32 v4, 0x3e750f2a, v126
	v_mov_b32_e32 v5, v167
	v_add_f32_e32 v4, v57, v4
	v_fmac_f32_e32 v5, 0xbeedf032, v12
	v_mul_f32_e32 v168, 0xbf3f9e67, v70
	v_add_f32_e32 v4, v5, v4
	v_mov_b32_e32 v5, v168
	v_fmac_f32_e32 v5, 0x3f29c268, v78
	v_mul_f32_e32 v169, 0x3f116cb1, v16
	v_add_f32_e32 v4, v5, v4
	v_mov_b32_e32 v5, v169
	v_fmac_f32_e32 v5, 0xbf52af12, v77
	v_mul_f32_e32 v170, 0xbeb58ec6, v67
	v_add_f32_e32 v4, v5, v4
	v_mov_b32_e32 v5, v170
	v_fmac_f32_e32 v5, 0x3f6f5d39, v75
	v_mul_f32_e32 v171, 0x3df6dbef, v61
	v_add_f32_e32 v4, v5, v4
	v_mov_b32_e32 v5, v171
	v_fma_f32 v6, v58, s13, -v6
	v_fmac_f32_e32 v5, 0xbf7e222b, v140
	v_mul_f32_e32 v172, 0xbe750f2a, v141
	v_add_f32_e32 v6, v57, v6
	v_fma_f32 v7, v15, s4, -v7
	v_add_f32_e32 v5, v5, v4
	v_mov_b32_e32 v4, v172
	v_mul_f32_e32 v173, 0x3eedf032, v144
	v_add_f32_e32 v6, v7, v6
	v_fma_f32 v7, v70, s12, -v8
	v_fmac_f32_e32 v4, 0xbf788fa5, v63
	v_mov_b32_e32 v174, v173
	v_add_f32_e32 v6, v7, v6
	v_fma_f32 v7, v16, s5, -v9
	v_add_f32_e32 v4, v56, v4
	v_fmac_f32_e32 v174, 0x3f62ad3f, v143
	v_add_f32_e32 v6, v7, v6
	v_fma_f32 v7, v67, s7, -v158
	v_mul_f32_e32 v158, 0xbeb58ec6, v58
	v_add_f32_e32 v4, v174, v4
	v_mul_f32_e32 v174, 0xbf29c268, v147
	v_add_f32_e32 v6, v7, v6
	v_fma_f32 v7, v61, s6, -v159
	v_mov_b32_e32 v8, v158
	v_mul_f32_e32 v159, 0xbf3f9e67, v15
	v_mov_b32_e32 v175, v174
	v_fmac_f32_e32 v160, 0xbf3f9e67, v63
	v_fmac_f32_e32 v8, 0x3f6f5d39, v126
	v_mov_b32_e32 v9, v159
	v_fmac_f32_e32 v175, 0xbf3f9e67, v146
	v_add_f32_e32 v7, v7, v6
	v_add_f32_e32 v6, v56, v160
	;; [unrolled: 1-line block ×3, first 2 shown]
	v_fmac_f32_e32 v9, 0xbf29c268, v12
	v_mul_f32_e32 v160, 0x3f62ad3f, v70
	v_add_f32_e32 v4, v175, v4
	v_mul_f32_e32 v175, 0x3f52af12, v150
	v_fmac_f32_e32 v161, 0x3df6dbef, v143
	v_add_f32_e32 v8, v9, v8
	v_mov_b32_e32 v9, v160
	v_mov_b32_e32 v176, v175
	v_add_f32_e32 v6, v161, v6
	v_fmac_f32_e32 v9, 0xbeedf032, v78
	v_mul_f32_e32 v161, 0x3df6dbef, v16
	v_fmac_f32_e32 v176, 0x3f116cb1, v149
	v_fmac_f32_e32 v162, 0x3f116cb1, v146
	v_add_f32_e32 v8, v9, v8
	v_mov_b32_e32 v9, v161
	v_add_f32_e32 v4, v176, v4
	v_mul_f32_e32 v176, 0xbf6f5d39, v153
	v_add_f32_e32 v6, v162, v6
	v_fmac_f32_e32 v9, 0x3f7e222b, v77
	v_mul_f32_e32 v162, 0xbf788fa5, v67
	v_mov_b32_e32 v177, v176
	v_fmac_f32_e32 v163, 0xbf788fa5, v149
	v_add_f32_e32 v8, v9, v8
	v_mov_b32_e32 v9, v162
	v_fmac_f32_e32 v177, 0xbeb58ec6, v152
	v_add_f32_e32 v6, v163, v6
	v_fmac_f32_e32 v9, 0xbe750f2a, v75
	v_mul_f32_e32 v163, 0x3f116cb1, v61
	v_add_f32_e32 v4, v177, v4
	v_mul_f32_e32 v177, 0x3f7e222b, v156
	v_fmac_f32_e32 v164, 0x3f62ad3f, v152
	v_add_f32_e32 v8, v9, v8
	v_mov_b32_e32 v9, v163
	v_fma_f32 v129, v58, s4, -v129
	v_mov_b32_e32 v178, v177
	v_add_f32_e32 v6, v164, v6
	v_fmac_f32_e32 v165, 0xbeb58ec6, v155
	v_fmac_f32_e32 v9, 0xbf52af12, v140
	v_mul_f32_e32 v164, 0xbf6f5d39, v141
	v_add_f32_e32 v129, v57, v129
	v_fma_f32 v118, v15, s5, -v118
	v_fmac_f32_e32 v178, 0x3df6dbef, v155
	v_add_f32_e32 v6, v165, v6
	v_add_f32_e32 v9, v9, v8
	v_mov_b32_e32 v8, v164
	v_mul_f32_e32 v165, 0x3f29c268, v144
	v_add_f32_e32 v118, v118, v129
	v_fma_f32 v14, v70, s6, -v14
	v_add_f32_e32 v4, v178, v4
	v_fmac_f32_e32 v8, 0xbeb58ec6, v63
	v_mov_b32_e32 v178, v165
	v_add_f32_e32 v14, v14, v118
	v_fma_f32 v13, v16, s7, -v13
	v_add_f32_e32 v8, v56, v8
	v_fmac_f32_e32 v178, 0xbf3f9e67, v143
	v_add_f32_e32 v13, v13, v14
	v_fma_f32 v10, v67, s12, -v10
	v_mul_f32_e32 v118, 0x3f116cb1, v58
	v_add_f32_e32 v8, v178, v8
	v_mul_f32_e32 v178, 0x3eedf032, v147
	v_add_f32_e32 v10, v10, v13
	v_mov_b32_e32 v13, v118
	v_mul_f32_e32 v129, 0xbeb58ec6, v15
	v_mov_b32_e32 v179, v178
	v_fma_f32 v11, v61, s13, -v11
	v_fmac_f32_e32 v142, 0x3df6dbef, v63
	v_fmac_f32_e32 v13, 0x3f52af12, v126
	v_mov_b32_e32 v14, v129
	v_fmac_f32_e32 v179, 0x3f62ad3f, v146
	v_add_f32_e32 v11, v11, v10
	v_add_f32_e32 v10, v56, v142
	;; [unrolled: 1-line block ×3, first 2 shown]
	v_fmac_f32_e32 v14, 0x3f6f5d39, v12
	v_mul_f32_e32 v142, 0xbf788fa5, v70
	v_add_f32_e32 v8, v179, v8
	v_mul_f32_e32 v179, 0xbf7e222b, v150
	v_fmac_f32_e32 v145, 0xbf788fa5, v143
	v_add_f32_e32 v13, v14, v13
	v_mov_b32_e32 v14, v142
	v_mov_b32_e32 v180, v179
	v_add_f32_e32 v10, v145, v10
	v_fmac_f32_e32 v14, 0x3e750f2a, v78
	v_mul_f32_e32 v145, 0xbf3f9e67, v16
	v_fmac_f32_e32 v180, 0x3df6dbef, v149
	v_fmac_f32_e32 v148, 0xbeb58ec6, v146
	v_add_f32_e32 v13, v14, v13
	v_mov_b32_e32 v14, v145
	v_add_f32_e32 v8, v180, v8
	v_mul_f32_e32 v180, 0x3e750f2a, v153
	v_add_f32_e32 v10, v148, v10
	v_fmac_f32_e32 v14, 0xbf29c268, v77
	v_mul_f32_e32 v148, 0x3df6dbef, v67
	v_mov_b32_e32 v181, v180
	v_fmac_f32_e32 v151, 0x3f62ad3f, v149
	v_add_f32_e32 v13, v14, v13
	v_mov_b32_e32 v14, v148
	v_fmac_f32_e32 v181, 0xbf788fa5, v152
	v_add_f32_e32 v10, v151, v10
	v_fmac_f32_e32 v14, 0xbf7e222b, v75
	v_mul_f32_e32 v151, 0x3f62ad3f, v61
	v_add_f32_e32 v8, v181, v8
	v_mul_f32_e32 v181, 0x3f52af12, v156
	v_fmac_f32_e32 v154, 0x3f116cb1, v152
	v_add_f32_e32 v13, v14, v13
	v_mov_b32_e32 v14, v151
	v_mov_b32_e32 v182, v181
	v_add_f32_e32 v10, v154, v10
	v_fmac_f32_e32 v157, 0xbf3f9e67, v155
	v_fmac_f32_e32 v14, 0xbeedf032, v140
	v_mul_f32_e32 v154, 0xbf52af12, v141
	v_fmac_f32_e32 v182, 0x3f116cb1, v155
	v_add_f32_e32 v10, v157, v10
	v_add_f32_e32 v14, v14, v13
	v_mov_b32_e32 v13, v154
	v_mul_f32_e32 v157, 0xbf6f5d39, v144
	v_add_f32_e32 v8, v182, v8
	v_fmac_f32_e32 v13, 0x3f116cb1, v63
	v_mov_b32_e32 v182, v157
	v_add_f32_e32 v23, v23, v57
	v_add_f32_e32 v13, v56, v13
	v_fmac_f32_e32 v182, 0xbeb58ec6, v143
	v_add_f32_e32 v21, v21, v23
	v_add_f32_e32 v13, v182, v13
	v_mul_f32_e32 v182, 0xbe750f2a, v147
	v_add_f32_e32 v19, v19, v21
	v_mov_b32_e32 v183, v182
	v_add_f32_e32 v19, v64, v19
	v_fmac_f32_e32 v183, 0xbf788fa5, v146
	v_add_f32_e32 v19, v66, v19
	v_add_f32_e32 v13, v183, v13
	v_mul_f32_e32 v183, 0x3f29c268, v150
	v_add_f32_e32 v19, v60, v19
	v_mov_b32_e32 v184, v183
	v_add_f32_e32 v19, v62, v19
	v_fmac_f32_e32 v184, 0xbf3f9e67, v149
	v_add_f32_e32 v19, v72, v19
	v_fmac_f32_e32 v166, 0xbe750f2a, v126
	v_add_f32_e32 v13, v184, v13
	v_mul_f32_e32 v184, 0x3f7e222b, v153
	v_add_f32_e32 v17, v17, v19
	v_add_f32_e32 v19, v57, v166
	v_fmac_f32_e32 v167, 0x3eedf032, v12
	v_mov_b32_e32 v185, v184
	v_add_f32_e32 v19, v167, v19
	v_fmac_f32_e32 v168, 0xbf29c268, v78
	v_fmac_f32_e32 v185, 0x3df6dbef, v152
	v_add_f32_e32 v19, v168, v19
	v_fmac_f32_e32 v169, 0x3f52af12, v77
	v_add_f32_e32 v13, v185, v13
	v_mul_f32_e32 v185, 0x3eedf032, v156
	v_add_f32_e32 v19, v169, v19
	v_fmac_f32_e32 v170, 0xbf6f5d39, v75
	v_mov_b32_e32 v186, v185
	v_add_f32_e32 v17, v18, v17
	v_add_f32_e32 v19, v170, v19
	v_fmac_f32_e32 v171, 0x3f7e222b, v140
	v_fmac_f32_e32 v186, 0x3f62ad3f, v155
	v_add_f32_e32 v17, v20, v17
	v_add_f32_e32 v20, v171, v19
	v_fma_f32 v19, v63, s5, -v172
	v_add_f32_e32 v13, v186, v13
	v_mul_f32_e32 v186, 0x3f62ad3f, v58
	v_add_f32_e32 v19, v56, v19
	v_fma_f32 v21, v143, s7, -v173
	v_mov_b32_e32 v58, v186
	v_mul_f32_e32 v187, 0x3f116cb1, v15
	v_add_f32_e32 v19, v21, v19
	v_fma_f32 v21, v146, s13, -v174
	v_fmac_f32_e32 v58, 0x3eedf032, v126
	v_mov_b32_e32 v15, v187
	v_add_f32_e32 v19, v21, v19
	v_fma_f32 v21, v149, s12, -v175
	v_add_f32_e32 v58, v57, v58
	v_fmac_f32_e32 v15, 0x3f52af12, v12
	v_mul_f32_e32 v70, 0x3df6dbef, v70
	v_add_f32_e32 v19, v21, v19
	v_fma_f32 v21, v152, s6, -v176
	v_add_f32_e32 v15, v15, v58
	v_mov_b32_e32 v58, v70
	v_mul_f32_e32 v188, 0xbeb58ec6, v16
	v_add_f32_e32 v19, v21, v19
	v_fma_f32 v21, v155, s4, -v177
	v_fmac_f32_e32 v158, 0xbf6f5d39, v126
	v_fmac_f32_e32 v58, 0x3f7e222b, v78
	v_mov_b32_e32 v16, v188
	v_add_f32_e32 v19, v21, v19
	v_add_f32_e32 v21, v57, v158
	v_fmac_f32_e32 v159, 0x3f29c268, v12
	v_add_f32_e32 v15, v58, v15
	v_fmac_f32_e32 v16, 0x3f6f5d39, v77
	v_mul_f32_e32 v67, 0xbf3f9e67, v67
	v_add_f32_e32 v21, v159, v21
	v_fmac_f32_e32 v160, 0x3eedf032, v78
	v_add_f32_e32 v15, v16, v15
	v_mov_b32_e32 v16, v67
	v_add_f32_e32 v21, v160, v21
	v_fmac_f32_e32 v161, 0xbf7e222b, v77
	v_fmac_f32_e32 v16, 0x3f29c268, v75
	v_mul_f32_e32 v61, 0xbf788fa5, v61
	v_add_f32_e32 v21, v161, v21
	v_fmac_f32_e32 v162, 0x3e750f2a, v75
	v_add_f32_e32 v15, v16, v15
	v_mov_b32_e32 v16, v61
	v_add_f32_e32 v21, v162, v21
	v_fmac_f32_e32 v163, 0x3f52af12, v140
	v_fmac_f32_e32 v16, 0x3e750f2a, v140
	v_mul_f32_e32 v141, 0xbeedf032, v141
	v_add_f32_e32 v18, v22, v17
	v_add_f32_e32 v22, v163, v21
	v_fma_f32 v21, v63, s6, -v164
	v_add_f32_e32 v16, v16, v15
	v_mov_b32_e32 v15, v141
	v_mul_f32_e32 v144, 0xbf52af12, v144
	v_add_f32_e32 v21, v56, v21
	v_fma_f32 v23, v143, s13, -v165
	v_fmac_f32_e32 v15, 0x3f62ad3f, v63
	v_mov_b32_e32 v58, v144
	v_add_f32_e32 v21, v23, v21
	v_fma_f32 v23, v146, s7, -v178
	v_add_f32_e32 v15, v56, v15
	v_fmac_f32_e32 v58, 0x3f116cb1, v143
	v_mul_f32_e32 v147, 0xbf7e222b, v147
	v_add_f32_e32 v21, v23, v21
	v_fma_f32 v23, v149, s4, -v179
	v_add_f32_e32 v15, v58, v15
	v_mov_b32_e32 v58, v147
	v_add_f32_e32 v21, v23, v21
	v_fma_f32 v23, v152, s5, -v180
	v_fmac_f32_e32 v58, 0x3df6dbef, v146
	v_mul_f32_e32 v150, 0xbf6f5d39, v150
	v_add_f32_e32 v21, v23, v21
	v_fma_f32 v23, v155, s12, -v181
	v_fmac_f32_e32 v118, 0xbf52af12, v126
	v_add_f32_e32 v15, v58, v15
	v_mov_b32_e32 v58, v150
	v_add_f32_e32 v21, v23, v21
	v_add_f32_e32 v23, v57, v118
	v_fmac_f32_e32 v129, 0xbf6f5d39, v12
	v_fmac_f32_e32 v58, 0xbeb58ec6, v149
	v_mul_f32_e32 v153, 0xbf29c268, v153
	v_add_f32_e32 v23, v129, v23
	v_fmac_f32_e32 v142, 0xbe750f2a, v78
	v_add_f32_e32 v15, v58, v15
	v_mov_b32_e32 v58, v153
	v_add_f32_e32 v23, v142, v23
	v_fmac_f32_e32 v145, 0x3f29c268, v77
	v_fmac_f32_e32 v58, 0xbf3f9e67, v152
	v_mul_f32_e32 v156, 0xbe750f2a, v156
	v_add_f32_e32 v23, v145, v23
	v_fmac_f32_e32 v148, 0x3f7e222b, v75
	v_add_f32_e32 v15, v58, v15
	v_mov_b32_e32 v58, v156
	v_add_f32_e32 v17, v56, v127
	v_add_f32_e32 v23, v148, v23
	v_fmac_f32_e32 v151, 0x3eedf032, v140
	v_fmac_f32_e32 v58, 0xbf788fa5, v155
	v_add_f32_e32 v17, v59, v17
	v_add_f32_e32 v59, v151, v23
	v_fma_f32 v23, v63, s12, -v154
	v_add_f32_e32 v15, v58, v15
	v_add_f32_e32 v23, v56, v23
	v_fma_f32 v58, v143, s6, -v157
	v_add_f32_e32 v23, v58, v23
	v_fma_f32 v58, v146, s5, -v182
	;; [unrolled: 2-line block ×5, first 2 shown]
	v_fmac_f32_e32 v186, 0xbeedf032, v126
	v_add_f32_e32 v58, v58, v23
	v_add_f32_e32 v23, v57, v186
	v_fmac_f32_e32 v187, 0xbf52af12, v12
	v_add_f32_e32 v12, v187, v23
	v_fmac_f32_e32 v70, 0xbf7e222b, v78
	;; [unrolled: 2-line block ×4, first 2 shown]
	v_add_f32_e32 v17, v68, v17
	v_add_f32_e32 v12, v67, v12
	v_fmac_f32_e32 v61, 0xbe750f2a, v140
	v_add_f32_e32 v17, v71, v17
	v_add_f32_e32 v57, v61, v12
	v_fma_f32 v12, v63, s7, -v141
	v_add_f32_e32 v17, v65, v17
	v_add_f32_e32 v12, v56, v12
	v_fma_f32 v23, v143, s12, -v144
	v_add_f32_e32 v17, v73, v17
	v_add_f32_e32 v12, v23, v12
	v_fma_f32 v23, v146, s4, -v147
	v_add_f32_e32 v17, v79, v17
	v_add_f32_e32 v12, v23, v12
	v_fma_f32 v23, v149, s6, -v150
	v_add_f32_e32 v17, v74, v17
	v_add_f32_e32 v12, v23, v12
	v_fma_f32 v23, v152, s13, -v153
	v_add_f32_e32 v17, v76, v17
	v_add_f32_e32 v12, v23, v12
	v_fma_f32 v23, v155, s5, -v156
	v_add_f32_e32 v17, v69, v17
	v_add_f32_e32 v56, v23, v12
	v_mul_u32_u24_e32 v12, 52, v123
	v_add_f32_e32 v17, v117, v17
	v_or_b32_e32 v12, v12, v122
	v_add_f32_e32 v17, v128, v17
	v_lshl_add_u32 v12, v12, 3, v121
	ds_write2_b64 v12, v[17:18], v[15:16] offset1:4
	ds_write2_b64 v12, v[13:14], v[10:11] offset0:8 offset1:12
	ds_write2_b64 v12, v[8:9], v[6:7] offset0:16 offset1:20
	;; [unrolled: 1-line block ×5, first 2 shown]
	ds_write_b64 v12, v[56:57] offset:384
.LBB0_9:
	s_or_b64 exec, exec, s[0:1]
	v_add_u32_e32 v62, 0xc00, v120
	s_waitcnt lgkmcnt(0)
	s_barrier
	ds_read2_b64 v[3:6], v120 offset1:78
	ds_read2_b64 v[7:10], v62 offset0:84 offset1:162
	ds_read2_b64 v[11:14], v120 offset0:156 offset1:234
	v_add_u32_e32 v2, 0x1000, v120
	ds_read2_b64 v[15:18], v2 offset0:112 offset1:190
	v_add_u32_e32 v0, 0x1800, v120
	ds_read2_b64 v[56:59], v0 offset0:12 offset1:90
	s_waitcnt lgkmcnt(3)
	v_mul_f32_e32 v23, v112, v8
	v_fmac_f32_e32 v23, v111, v7
	v_mul_f32_e32 v7, v112, v7
	v_add_u32_e32 v1, 0x800, v120
	v_fma_f32 v8, v111, v8, -v7
	v_mul_f32_e32 v7, v110, v9
	ds_read2_b64 v[19:22], v1 offset0:56 offset1:134
	v_mul_f32_e32 v63, v110, v10
	v_fma_f32 v10, v109, v10, -v7
	s_waitcnt lgkmcnt(2)
	v_mul_f32_e32 v7, v108, v15
	v_mul_f32_e32 v64, v108, v16
	v_fma_f32 v16, v107, v16, -v7
	v_mul_f32_e32 v7, v106, v17
	v_mul_f32_e32 v65, v106, v18
	v_fma_f32 v18, v105, v18, -v7
	s_waitcnt lgkmcnt(1)
	v_mul_f32_e32 v7, v116, v56
	v_mul_f32_e32 v66, v116, v57
	v_fma_f32 v57, v115, v57, -v7
	v_mul_f32_e32 v67, v114, v59
	v_mul_f32_e32 v7, v114, v58
	v_fmac_f32_e32 v63, v109, v9
	v_fmac_f32_e32 v64, v107, v15
	;; [unrolled: 1-line block ×5, first 2 shown]
	v_fma_f32 v59, v113, v59, -v7
	v_sub_f32_e32 v7, v3, v23
	v_sub_f32_e32 v8, v4, v8
	;; [unrolled: 1-line block ×8, first 2 shown]
	s_waitcnt lgkmcnt(0)
	v_sub_f32_e32 v56, v19, v66
	v_sub_f32_e32 v57, v20, v57
	;; [unrolled: 1-line block ×4, first 2 shown]
	v_fma_f32 v3, v3, 2.0, -v7
	v_fma_f32 v4, v4, 2.0, -v8
	;; [unrolled: 1-line block ×12, first 2 shown]
	s_barrier
	ds_write2_b64 v130, v[3:4], v[7:8] offset1:52
	ds_write2_b64 v131, v[5:6], v[9:10] offset1:52
	ds_write2_b64 v132, v[11:12], v[15:16] offset1:52
	ds_write2_b64 v133, v[13:14], v[17:18] offset1:52
	ds_write2_b64 v134, v[19:20], v[56:57] offset1:52
	ds_write2_b64 v135, v[21:22], v[58:59] offset1:52
	s_waitcnt lgkmcnt(0)
	s_barrier
	ds_read2_b64 v[3:6], v120 offset1:78
	ds_read2_b64 v[7:10], v1 offset0:56 offset1:134
	ds_read2_b64 v[11:14], v2 offset0:112 offset1:190
	ds_read2_b64 v[15:18], v120 offset0:156 offset1:234
	ds_read2_b64 v[19:22], v62 offset0:84 offset1:162
	ds_read2_b64 v[56:59], v0 offset0:12 offset1:90
	s_waitcnt lgkmcnt(4)
	v_mul_f32_e32 v23, v25, v8
	v_fmac_f32_e32 v23, v24, v7
	v_mul_f32_e32 v7, v25, v7
	v_fma_f32 v24, v24, v8, -v7
	s_waitcnt lgkmcnt(3)
	v_mul_f32_e32 v25, v27, v12
	v_mul_f32_e32 v7, v27, v11
	v_fmac_f32_e32 v25, v26, v11
	v_fma_f32 v11, v26, v12, -v7
	v_mul_f32_e32 v7, v29, v9
	v_mul_f32_e32 v26, v29, v10
	v_fma_f32 v27, v28, v10, -v7
	v_mul_f32_e32 v7, v31, v13
	v_fmac_f32_e32 v26, v28, v9
	v_mul_f32_e32 v28, v31, v14
	v_fma_f32 v14, v30, v14, -v7
	s_waitcnt lgkmcnt(1)
	v_mul_f32_e32 v7, v33, v19
	v_fmac_f32_e32 v28, v30, v13
	v_mul_f32_e32 v29, v33, v20
	v_fma_f32 v30, v32, v20, -v7
	s_waitcnt lgkmcnt(0)
	v_mul_f32_e32 v7, v35, v56
	v_fmac_f32_e32 v29, v32, v19
	v_mul_f32_e32 v31, v35, v57
	v_fma_f32 v32, v34, v57, -v7
	v_mul_f32_e32 v7, v37, v21
	v_fmac_f32_e32 v31, v34, v56
	v_mul_f32_e32 v33, v37, v22
	v_fma_f32 v34, v36, v22, -v7
	v_mul_f32_e32 v7, v39, v58
	v_add_f32_e32 v8, v23, v25
	v_fmac_f32_e32 v33, v36, v21
	v_fma_f32 v36, v38, v59, -v7
	v_add_f32_e32 v7, v3, v23
	v_fma_f32 v3, -0.5, v8, v3
	v_sub_f32_e32 v8, v24, v11
	v_mov_b32_e32 v9, v3
	v_add_f32_e32 v10, v24, v11
	v_fmac_f32_e32 v9, 0xbf5db3d7, v8
	v_fmac_f32_e32 v3, 0x3f5db3d7, v8
	v_add_f32_e32 v8, v4, v24
	v_fma_f32 v4, -0.5, v10, v4
	v_add_f32_e32 v8, v8, v11
	v_sub_f32_e32 v11, v23, v25
	v_mov_b32_e32 v10, v4
	v_add_f32_e32 v12, v26, v28
	v_fmac_f32_e32 v10, 0x3f5db3d7, v11
	v_fmac_f32_e32 v4, 0xbf5db3d7, v11
	v_add_f32_e32 v11, v5, v26
	v_fma_f32 v5, -0.5, v12, v5
	v_sub_f32_e32 v12, v27, v14
	v_mov_b32_e32 v13, v5
	v_fmac_f32_e32 v13, 0xbf5db3d7, v12
	v_fmac_f32_e32 v5, 0x3f5db3d7, v12
	v_add_f32_e32 v12, v6, v27
	v_add_f32_e32 v12, v12, v14
	;; [unrolled: 1-line block ×3, first 2 shown]
	v_fmac_f32_e32 v6, -0.5, v14
	v_sub_f32_e32 v19, v26, v28
	v_mov_b32_e32 v14, v6
	v_add_f32_e32 v20, v29, v31
	v_fmac_f32_e32 v14, 0x3f5db3d7, v19
	v_fmac_f32_e32 v6, 0xbf5db3d7, v19
	v_add_f32_e32 v19, v15, v29
	v_fma_f32 v15, -0.5, v20, v15
	v_mul_f32_e32 v35, v39, v59
	v_sub_f32_e32 v20, v30, v32
	v_mov_b32_e32 v21, v15
	v_add_f32_e32 v22, v30, v32
	v_fmac_f32_e32 v35, v38, v58
	v_fmac_f32_e32 v21, 0xbf5db3d7, v20
	;; [unrolled: 1-line block ×3, first 2 shown]
	v_add_f32_e32 v20, v16, v30
	v_fma_f32 v16, -0.5, v22, v16
	v_sub_f32_e32 v23, v29, v31
	v_mov_b32_e32 v22, v16
	v_add_f32_e32 v24, v33, v35
	v_fmac_f32_e32 v22, 0x3f5db3d7, v23
	v_fmac_f32_e32 v16, 0xbf5db3d7, v23
	v_add_f32_e32 v23, v17, v33
	v_fma_f32 v17, -0.5, v24, v17
	v_add_f32_e32 v7, v7, v25
	v_sub_f32_e32 v24, v34, v36
	v_mov_b32_e32 v25, v17
	v_add_f32_e32 v26, v34, v36
	v_fmac_f32_e32 v25, 0xbf5db3d7, v24
	v_fmac_f32_e32 v17, 0x3f5db3d7, v24
	v_add_f32_e32 v24, v18, v34
	v_fmac_f32_e32 v18, -0.5, v26
	v_sub_f32_e32 v27, v33, v35
	v_mov_b32_e32 v26, v18
	v_add_f32_e32 v11, v11, v28
	v_add_f32_e32 v19, v19, v31
	;; [unrolled: 1-line block ×5, first 2 shown]
	v_fmac_f32_e32 v26, 0x3f5db3d7, v27
	v_fmac_f32_e32 v18, 0xbf5db3d7, v27
	s_barrier
	ds_write2_b64 v120, v[7:8], v[9:10] offset1:104
	ds_write_b64 v120, v[3:4] offset:1664
	ds_write2_b64 v136, v[11:12], v[13:14] offset1:104
	ds_write_b64 v136, v[5:6] offset:1664
	;; [unrolled: 2-line block ×3, first 2 shown]
	v_add_u32_e32 v3, 0x1000, v138
	ds_write2_b64 v3, v[23:24], v[25:26] offset0:112 offset1:216
	ds_write_b64 v138, v[17:18] offset:6656
	s_waitcnt lgkmcnt(0)
	s_barrier
	ds_read2_b64 v[3:6], v120 offset1:78
	ds_read2_b64 v[7:10], v1 offset0:56 offset1:134
	ds_read2_b64 v[11:14], v2 offset0:112 offset1:190
	ds_read2_b64 v[15:18], v120 offset0:156 offset1:234
	ds_read2_b64 v[19:22], v62 offset0:84 offset1:162
	ds_read2_b64 v[23:26], v0 offset0:12 offset1:90
	s_waitcnt lgkmcnt(4)
	v_mul_f32_e32 v27, v41, v8
	v_fmac_f32_e32 v27, v40, v7
	v_mul_f32_e32 v7, v41, v7
	v_fma_f32 v28, v40, v8, -v7
	s_waitcnt lgkmcnt(3)
	v_mul_f32_e32 v29, v43, v12
	v_mul_f32_e32 v7, v43, v11
	v_fmac_f32_e32 v29, v42, v11
	v_fma_f32 v11, v42, v12, -v7
	v_mul_f32_e32 v7, v45, v9
	v_fma_f32 v31, v44, v10, -v7
	v_mul_f32_e32 v7, v47, v13
	v_mul_f32_e32 v32, v47, v14
	v_fma_f32 v14, v46, v14, -v7
	s_waitcnt lgkmcnt(1)
	v_mul_f32_e32 v7, v49, v19
	v_fma_f32 v34, v48, v20, -v7
	s_waitcnt lgkmcnt(0)
	v_mul_f32_e32 v35, v51, v24
	v_mul_f32_e32 v7, v51, v23
	v_fmac_f32_e32 v35, v50, v23
	v_fma_f32 v23, v50, v24, -v7
	v_mul_f32_e32 v7, v53, v21
	v_fma_f32 v37, v52, v22, -v7
	v_mul_f32_e32 v7, v55, v25
	v_add_f32_e32 v8, v27, v29
	v_mul_f32_e32 v30, v45, v10
	v_mul_f32_e32 v38, v55, v26
	v_fma_f32 v26, v54, v26, -v7
	v_add_f32_e32 v7, v3, v27
	v_fma_f32 v3, -0.5, v8, v3
	v_fmac_f32_e32 v30, v44, v9
	v_sub_f32_e32 v8, v28, v11
	v_mov_b32_e32 v9, v3
	v_add_f32_e32 v10, v28, v11
	v_fmac_f32_e32 v32, v46, v13
	v_fmac_f32_e32 v9, 0xbf5db3d7, v8
	;; [unrolled: 1-line block ×3, first 2 shown]
	v_add_f32_e32 v8, v4, v28
	v_fma_f32 v4, -0.5, v10, v4
	v_add_f32_e32 v8, v8, v11
	v_sub_f32_e32 v11, v27, v29
	v_mov_b32_e32 v10, v4
	v_add_f32_e32 v12, v30, v32
	v_fmac_f32_e32 v10, 0x3f5db3d7, v11
	v_fmac_f32_e32 v4, 0xbf5db3d7, v11
	v_add_f32_e32 v11, v5, v30
	v_fma_f32 v5, -0.5, v12, v5
	v_sub_f32_e32 v12, v31, v14
	v_mov_b32_e32 v13, v5
	v_fmac_f32_e32 v13, 0xbf5db3d7, v12
	v_fmac_f32_e32 v5, 0x3f5db3d7, v12
	v_add_f32_e32 v12, v6, v31
	v_mul_f32_e32 v33, v49, v20
	v_add_f32_e32 v12, v12, v14
	v_add_f32_e32 v14, v31, v14
	v_fmac_f32_e32 v33, v48, v19
	v_fmac_f32_e32 v6, -0.5, v14
	v_sub_f32_e32 v19, v30, v32
	v_mov_b32_e32 v14, v6
	v_add_f32_e32 v20, v33, v35
	v_mul_f32_e32 v36, v53, v22
	v_fmac_f32_e32 v14, 0x3f5db3d7, v19
	v_fmac_f32_e32 v6, 0xbf5db3d7, v19
	v_add_f32_e32 v19, v15, v33
	v_fma_f32 v15, -0.5, v20, v15
	v_fmac_f32_e32 v36, v52, v21
	v_sub_f32_e32 v20, v34, v23
	v_mov_b32_e32 v21, v15
	v_add_f32_e32 v22, v34, v23
	v_fmac_f32_e32 v38, v54, v25
	v_fmac_f32_e32 v21, 0xbf5db3d7, v20
	;; [unrolled: 1-line block ×3, first 2 shown]
	v_add_f32_e32 v20, v16, v34
	v_fma_f32 v16, -0.5, v22, v16
	v_add_f32_e32 v20, v20, v23
	v_sub_f32_e32 v23, v33, v35
	v_mov_b32_e32 v22, v16
	v_add_f32_e32 v24, v36, v38
	v_fmac_f32_e32 v22, 0x3f5db3d7, v23
	v_fmac_f32_e32 v16, 0xbf5db3d7, v23
	v_add_f32_e32 v23, v17, v36
	v_fma_f32 v17, -0.5, v24, v17
	v_sub_f32_e32 v24, v37, v26
	v_mov_b32_e32 v25, v17
	v_fmac_f32_e32 v25, 0xbf5db3d7, v24
	v_fmac_f32_e32 v17, 0x3f5db3d7, v24
	v_add_f32_e32 v24, v18, v37
	v_add_f32_e32 v24, v24, v26
	;; [unrolled: 1-line block ×3, first 2 shown]
	v_fmac_f32_e32 v18, -0.5, v26
	v_mad_u64_u32 v[60:61], s[0:1], s10, v94, 0
	v_add_f32_e32 v7, v7, v29
	v_sub_f32_e32 v27, v36, v38
	v_mov_b32_e32 v26, v18
	v_add_f32_e32 v11, v11, v32
	v_add_f32_e32 v19, v19, v35
	;; [unrolled: 1-line block ×3, first 2 shown]
	v_fmac_f32_e32 v26, 0x3f5db3d7, v27
	v_fmac_f32_e32 v18, 0xbf5db3d7, v27
	ds_write_b64 v120, v[7:8]
	ds_write_b64 v120, v[9:10] offset:2496
	ds_write_b64 v139, v[3:4] offset:4992
	;; [unrolled: 1-line block ×7, first 2 shown]
	ds_write2_b64 v120, v[19:20], v[23:24] offset0:156 offset1:234
	ds_write_b64 v124, v[25:26] offset:2496
	ds_write_b64 v124, v[17:18] offset:4992
	s_waitcnt lgkmcnt(0)
	s_barrier
	ds_read2_b64 v[3:6], v120 offset1:78
	v_mov_b32_e32 v7, v61
	v_mad_u64_u32 v[7:8], s[0:1], s11, v94, v[7:8]
	s_mov_b32 s0, 0x11811812
	s_waitcnt lgkmcnt(0)
	v_mul_f32_e32 v8, v104, v4
	v_fmac_f32_e32 v8, v103, v3
	v_cvt_f64_f32_e32 v[8:9], v8
	s_mov_b32 s1, 0x3f518118
	v_mad_u64_u32 v[11:12], s[4:5], s8, v119, 0
	v_mul_f64 v[8:9], v[8:9], s[0:1]
	v_mul_f32_e32 v3, v104, v3
	v_fma_f32 v3, v103, v4, -v3
	v_cvt_f64_f32_e32 v[3:4], v3
	v_mov_b32_e32 v61, v7
	v_mov_b32_e32 v7, v12
	;; [unrolled: 1-line block ×3, first 2 shown]
	v_mul_f64 v[3:4], v[3:4], s[0:1]
	v_mad_u64_u32 v[12:13], s[4:5], s9, v119, v[7:8]
	v_cvt_f32_f64_e32 v13, v[8:9]
	ds_read2_b64 v[7:10], v62 offset0:84 offset1:162
	v_lshlrev_b64 v[11:12], 3, v[11:12]
	s_mul_hi_u32 s3, s8, 0xea0
	s_mul_hi_u32 s5, s8, 0xfffff3d0
	v_cvt_f32_f64_e32 v14, v[3:4]
	s_waitcnt lgkmcnt(0)
	v_mul_f32_e32 v15, v102, v8
	v_fmac_f32_e32 v15, v101, v7
	v_mul_f32_e32 v7, v102, v7
	v_fma_f32 v7, v101, v8, -v7
	v_cvt_f64_f32_e32 v[15:16], v15
	v_cvt_f64_f32_e32 v[7:8], v7
	v_lshlrev_b64 v[3:4], 3, v[60:61]
	s_mul_i32 s4, s9, 0xfffff3d0
	v_add_co_u32_e32 v18, vcc, s2, v3
	v_addc_co_u32_e32 v17, vcc, v17, v4, vcc
	v_mul_f64 v[3:4], v[15:16], s[0:1]
	v_mul_f64 v[7:8], v[7:8], s[0:1]
	v_add_co_u32_e32 v11, vcc, v18, v11
	s_mul_i32 s2, s9, 0xea0
	v_addc_co_u32_e32 v12, vcc, v17, v12, vcc
	s_add_i32 s2, s3, s2
	v_cvt_f32_f64_e32 v3, v[3:4]
	v_cvt_f32_f64_e32 v4, v[7:8]
	v_mul_f32_e32 v7, v100, v6
	v_fmac_f32_e32 v7, v99, v5
	v_mul_f32_e32 v5, v100, v5
	v_fma_f32 v5, v99, v6, -v5
	v_cvt_f64_f32_e32 v[7:8], v7
	v_cvt_f64_f32_e32 v[5:6], v5
	s_mul_i32 s3, s8, 0xea0
	global_store_dwordx2 v[11:12], v[13:14], off
	v_mul_f64 v[7:8], v[7:8], s[0:1]
	v_mul_f64 v[5:6], v[5:6], s[0:1]
	v_mov_b32_e32 v13, s2
	v_add_co_u32_e32 v11, vcc, s3, v11
	v_addc_co_u32_e32 v12, vcc, v12, v13, vcc
	global_store_dwordx2 v[11:12], v[3:4], off
	v_cvt_f32_f64_e32 v7, v[7:8]
	v_cvt_f32_f64_e32 v8, v[5:6]
	v_mul_f32_e32 v3, v98, v10
	v_mul_f32_e32 v5, v98, v9
	v_fmac_f32_e32 v3, v97, v9
	v_fma_f32 v5, v97, v10, -v5
	v_cvt_f64_f32_e32 v[3:4], v3
	v_cvt_f64_f32_e32 v[5:6], v5
	s_sub_i32 s5, s5, s8
	s_add_i32 s4, s5, s4
	v_mul_f64 v[9:10], v[3:4], s[0:1]
	v_mul_f64 v[13:14], v[5:6], s[0:1]
	ds_read2_b64 v[3:6], v120 offset0:156 offset1:234
	s_mul_i32 s5, s8, 0xfffff3d0
	v_mov_b32_e32 v15, s4
	v_add_co_u32_e32 v11, vcc, s5, v11
	v_addc_co_u32_e32 v12, vcc, v12, v15, vcc
	global_store_dwordx2 v[11:12], v[7:8], off
	s_waitcnt lgkmcnt(0)
	v_mul_f32_e32 v7, v96, v4
	v_fmac_f32_e32 v7, v95, v3
	v_cvt_f64_f32_e32 v[7:8], v7
	v_mul_f32_e32 v3, v96, v3
	v_cvt_f32_f64_e32 v15, v[9:10]
	v_cvt_f32_f64_e32 v16, v[13:14]
	v_mul_f64 v[13:14], v[7:8], s[0:1]
	v_fma_f32 v3, v95, v4, -v3
	ds_read2_b64 v[7:10], v2 offset0:112 offset1:190
	v_cvt_f64_f32_e32 v[3:4], v3
	v_mov_b32_e32 v17, s2
	v_add_co_u32_e32 v11, vcc, s3, v11
	v_mul_f64 v[2:3], v[3:4], s[0:1]
	s_waitcnt lgkmcnt(0)
	v_mul_f32_e32 v4, v93, v8
	v_addc_co_u32_e32 v12, vcc, v12, v17, vcc
	v_fmac_f32_e32 v4, v92, v7
	global_store_dwordx2 v[11:12], v[15:16], off
	v_cvt_f64_f32_e32 v[15:16], v4
	v_mul_f32_e32 v4, v93, v7
	v_fma_f32 v4, v92, v8, -v4
	v_cvt_f64_f32_e32 v[7:8], v4
	v_cvt_f32_f64_e32 v13, v[13:14]
	v_cvt_f32_f64_e32 v14, v[2:3]
	v_mul_f64 v[2:3], v[15:16], s[0:1]
	v_mul_f64 v[7:8], v[7:8], s[0:1]
	v_mov_b32_e32 v4, s4
	v_add_co_u32_e32 v11, vcc, s5, v11
	v_addc_co_u32_e32 v12, vcc, v12, v4, vcc
	v_mul_f32_e32 v4, v91, v6
	v_fmac_f32_e32 v4, v90, v5
	global_store_dwordx2 v[11:12], v[13:14], off
	v_cvt_f64_f32_e32 v[13:14], v4
	v_cvt_f32_f64_e32 v2, v[2:3]
	v_cvt_f32_f64_e32 v3, v[7:8]
	v_mul_f32_e32 v4, v91, v5
	v_mul_f64 v[7:8], v[13:14], s[0:1]
	v_fma_f32 v4, v90, v6, -v4
	v_cvt_f64_f32_e32 v[4:5], v4
	v_mov_b32_e32 v15, s2
	v_add_co_u32_e32 v11, vcc, s3, v11
	v_addc_co_u32_e32 v12, vcc, v12, v15, vcc
	global_store_dwordx2 v[11:12], v[2:3], off
	v_mul_f64 v[2:3], v[4:5], s[0:1]
	v_mul_f32_e32 v4, v89, v10
	v_fmac_f32_e32 v4, v88, v9
	v_cvt_f32_f64_e32 v5, v[7:8]
	v_cvt_f64_f32_e32 v[7:8], v4
	v_mul_f32_e32 v4, v89, v9
	v_fma_f32 v4, v88, v10, -v4
	v_cvt_f64_f32_e32 v[9:10], v4
	v_cvt_f32_f64_e32 v6, v[2:3]
	v_mov_b32_e32 v2, s4
	v_mul_f64 v[7:8], v[7:8], s[0:1]
	v_mul_f64 v[9:10], v[9:10], s[0:1]
	v_add_co_u32_e32 v11, vcc, s5, v11
	v_addc_co_u32_e32 v12, vcc, v12, v2, vcc
	ds_read2_b64 v[1:4], v1 offset0:56 offset1:134
	global_store_dwordx2 v[11:12], v[5:6], off
	v_cvt_f32_f64_e32 v13, v[7:8]
	v_cvt_f32_f64_e32 v14, v[9:10]
	v_add_co_u32_e32 v11, vcc, s3, v11
	s_waitcnt lgkmcnt(0)
	v_mul_f32_e32 v5, v87, v2
	v_fmac_f32_e32 v5, v86, v1
	v_mul_f32_e32 v1, v87, v1
	v_cvt_f64_f32_e32 v[9:10], v5
	v_fma_f32 v1, v86, v2, -v1
	ds_read2_b64 v[5:8], v0 offset0:12 offset1:90
	v_cvt_f64_f32_e32 v[1:2], v1
	v_mul_f64 v[9:10], v[9:10], s[0:1]
	v_addc_co_u32_e32 v12, vcc, v12, v15, vcc
	v_mul_f64 v[0:1], v[1:2], s[0:1]
	s_waitcnt lgkmcnt(0)
	v_mul_f32_e32 v2, v85, v6
	v_fmac_f32_e32 v2, v84, v5
	global_store_dwordx2 v[11:12], v[13:14], off
	v_cvt_f64_f32_e32 v[13:14], v2
	v_mul_f32_e32 v2, v85, v5
	v_fma_f32 v2, v84, v6, -v2
	v_cvt_f64_f32_e32 v[5:6], v2
	v_cvt_f32_f64_e32 v9, v[9:10]
	v_cvt_f32_f64_e32 v10, v[0:1]
	v_mul_f64 v[0:1], v[13:14], s[0:1]
	v_mul_f64 v[5:6], v[5:6], s[0:1]
	v_mov_b32_e32 v2, s4
	v_add_co_u32_e32 v11, vcc, s5, v11
	v_addc_co_u32_e32 v12, vcc, v12, v2, vcc
	v_mul_f32_e32 v2, v83, v4
	v_fmac_f32_e32 v2, v82, v3
	v_cvt_f32_f64_e32 v0, v[0:1]
	v_cvt_f32_f64_e32 v1, v[5:6]
	v_cvt_f64_f32_e32 v[5:6], v2
	v_mul_f32_e32 v2, v83, v3
	v_fma_f32 v2, v82, v4, -v2
	v_cvt_f64_f32_e32 v[2:3], v2
	global_store_dwordx2 v[11:12], v[9:10], off
	v_mov_b32_e32 v10, s2
	v_add_co_u32_e32 v9, vcc, s3, v11
	v_addc_co_u32_e32 v10, vcc, v12, v10, vcc
	global_store_dwordx2 v[9:10], v[0:1], off
	v_mul_f64 v[0:1], v[5:6], s[0:1]
	v_mul_f64 v[2:3], v[2:3], s[0:1]
	v_mul_f32_e32 v4, v81, v8
	v_mul_f32_e32 v6, v81, v7
	v_fmac_f32_e32 v4, v80, v7
	v_fma_f32 v6, v80, v8, -v6
	v_cvt_f64_f32_e32 v[4:5], v4
	v_cvt_f64_f32_e32 v[6:7], v6
	v_cvt_f32_f64_e32 v0, v[0:1]
	v_cvt_f32_f64_e32 v1, v[2:3]
	v_mul_f64 v[2:3], v[4:5], s[0:1]
	v_mul_f64 v[4:5], v[6:7], s[0:1]
	v_mov_b32_e32 v7, s4
	v_add_co_u32_e32 v6, vcc, s5, v9
	v_addc_co_u32_e32 v7, vcc, v10, v7, vcc
	global_store_dwordx2 v[6:7], v[0:1], off
	v_cvt_f32_f64_e32 v0, v[2:3]
	v_cvt_f32_f64_e32 v1, v[4:5]
	v_mov_b32_e32 v3, s2
	v_add_co_u32_e32 v2, vcc, s3, v6
	v_addc_co_u32_e32 v3, vcc, v7, v3, vcc
	global_store_dwordx2 v[2:3], v[0:1], off
.LBB0_10:
	s_endpgm
	.section	.rodata,"a",@progbits
	.p2align	6, 0x0
	.amdhsa_kernel bluestein_single_back_len936_dim1_sp_op_CI_CI
		.amdhsa_group_segment_fixed_size 22464
		.amdhsa_private_segment_fixed_size 0
		.amdhsa_kernarg_size 104
		.amdhsa_user_sgpr_count 6
		.amdhsa_user_sgpr_private_segment_buffer 1
		.amdhsa_user_sgpr_dispatch_ptr 0
		.amdhsa_user_sgpr_queue_ptr 0
		.amdhsa_user_sgpr_kernarg_segment_ptr 1
		.amdhsa_user_sgpr_dispatch_id 0
		.amdhsa_user_sgpr_flat_scratch_init 0
		.amdhsa_user_sgpr_private_segment_size 0
		.amdhsa_uses_dynamic_stack 0
		.amdhsa_system_sgpr_private_segment_wavefront_offset 0
		.amdhsa_system_sgpr_workgroup_id_x 1
		.amdhsa_system_sgpr_workgroup_id_y 0
		.amdhsa_system_sgpr_workgroup_id_z 0
		.amdhsa_system_sgpr_workgroup_info 0
		.amdhsa_system_vgpr_workitem_id 0
		.amdhsa_next_free_vgpr 199
		.amdhsa_next_free_sgpr 20
		.amdhsa_reserve_vcc 1
		.amdhsa_reserve_flat_scratch 0
		.amdhsa_float_round_mode_32 0
		.amdhsa_float_round_mode_16_64 0
		.amdhsa_float_denorm_mode_32 3
		.amdhsa_float_denorm_mode_16_64 3
		.amdhsa_dx10_clamp 1
		.amdhsa_ieee_mode 1
		.amdhsa_fp16_overflow 0
		.amdhsa_exception_fp_ieee_invalid_op 0
		.amdhsa_exception_fp_denorm_src 0
		.amdhsa_exception_fp_ieee_div_zero 0
		.amdhsa_exception_fp_ieee_overflow 0
		.amdhsa_exception_fp_ieee_underflow 0
		.amdhsa_exception_fp_ieee_inexact 0
		.amdhsa_exception_int_div_zero 0
	.end_amdhsa_kernel
	.text
.Lfunc_end0:
	.size	bluestein_single_back_len936_dim1_sp_op_CI_CI, .Lfunc_end0-bluestein_single_back_len936_dim1_sp_op_CI_CI
                                        ; -- End function
	.section	.AMDGPU.csdata,"",@progbits
; Kernel info:
; codeLenInByte = 14836
; NumSgprs: 24
; NumVgprs: 199
; ScratchSize: 0
; MemoryBound: 0
; FloatMode: 240
; IeeeMode: 1
; LDSByteSize: 22464 bytes/workgroup (compile time only)
; SGPRBlocks: 2
; VGPRBlocks: 49
; NumSGPRsForWavesPerEU: 24
; NumVGPRsForWavesPerEU: 199
; Occupancy: 1
; WaveLimiterHint : 1
; COMPUTE_PGM_RSRC2:SCRATCH_EN: 0
; COMPUTE_PGM_RSRC2:USER_SGPR: 6
; COMPUTE_PGM_RSRC2:TRAP_HANDLER: 0
; COMPUTE_PGM_RSRC2:TGID_X_EN: 1
; COMPUTE_PGM_RSRC2:TGID_Y_EN: 0
; COMPUTE_PGM_RSRC2:TGID_Z_EN: 0
; COMPUTE_PGM_RSRC2:TIDIG_COMP_CNT: 0
	.type	__hip_cuid_d56b1c5a7d1a83d7,@object ; @__hip_cuid_d56b1c5a7d1a83d7
	.section	.bss,"aw",@nobits
	.globl	__hip_cuid_d56b1c5a7d1a83d7
__hip_cuid_d56b1c5a7d1a83d7:
	.byte	0                               ; 0x0
	.size	__hip_cuid_d56b1c5a7d1a83d7, 1

	.ident	"AMD clang version 19.0.0git (https://github.com/RadeonOpenCompute/llvm-project roc-6.4.0 25133 c7fe45cf4b819c5991fe208aaa96edf142730f1d)"
	.section	".note.GNU-stack","",@progbits
	.addrsig
	.addrsig_sym __hip_cuid_d56b1c5a7d1a83d7
	.amdgpu_metadata
---
amdhsa.kernels:
  - .args:
      - .actual_access:  read_only
        .address_space:  global
        .offset:         0
        .size:           8
        .value_kind:     global_buffer
      - .actual_access:  read_only
        .address_space:  global
        .offset:         8
        .size:           8
        .value_kind:     global_buffer
      - .actual_access:  read_only
        .address_space:  global
        .offset:         16
        .size:           8
        .value_kind:     global_buffer
      - .actual_access:  read_only
        .address_space:  global
        .offset:         24
        .size:           8
        .value_kind:     global_buffer
      - .actual_access:  read_only
        .address_space:  global
        .offset:         32
        .size:           8
        .value_kind:     global_buffer
      - .offset:         40
        .size:           8
        .value_kind:     by_value
      - .address_space:  global
        .offset:         48
        .size:           8
        .value_kind:     global_buffer
      - .address_space:  global
        .offset:         56
        .size:           8
        .value_kind:     global_buffer
      - .address_space:  global
        .offset:         64
        .size:           8
        .value_kind:     global_buffer
      - .address_space:  global
        .offset:         72
        .size:           8
        .value_kind:     global_buffer
      - .offset:         80
        .size:           4
        .value_kind:     by_value
      - .address_space:  global
        .offset:         88
        .size:           8
        .value_kind:     global_buffer
      - .address_space:  global
        .offset:         96
        .size:           8
        .value_kind:     global_buffer
    .group_segment_fixed_size: 22464
    .kernarg_segment_align: 8
    .kernarg_segment_size: 104
    .language:       OpenCL C
    .language_version:
      - 2
      - 0
    .max_flat_workgroup_size: 234
    .name:           bluestein_single_back_len936_dim1_sp_op_CI_CI
    .private_segment_fixed_size: 0
    .sgpr_count:     24
    .sgpr_spill_count: 0
    .symbol:         bluestein_single_back_len936_dim1_sp_op_CI_CI.kd
    .uniform_work_group_size: 1
    .uses_dynamic_stack: false
    .vgpr_count:     199
    .vgpr_spill_count: 0
    .wavefront_size: 64
amdhsa.target:   amdgcn-amd-amdhsa--gfx906
amdhsa.version:
  - 1
  - 2
...

	.end_amdgpu_metadata
